;; amdgpu-corpus repo=ROCm/rocFFT kind=compiled arch=gfx1201 opt=O3
	.text
	.amdgcn_target "amdgcn-amd-amdhsa--gfx1201"
	.amdhsa_code_object_version 6
	.protected	fft_rtc_back_len864_factors_3_6_16_3_wgs_54_tpt_54_halfLds_sp_op_CI_CI_sbrr_dirReg ; -- Begin function fft_rtc_back_len864_factors_3_6_16_3_wgs_54_tpt_54_halfLds_sp_op_CI_CI_sbrr_dirReg
	.globl	fft_rtc_back_len864_factors_3_6_16_3_wgs_54_tpt_54_halfLds_sp_op_CI_CI_sbrr_dirReg
	.p2align	8
	.type	fft_rtc_back_len864_factors_3_6_16_3_wgs_54_tpt_54_halfLds_sp_op_CI_CI_sbrr_dirReg,@function
fft_rtc_back_len864_factors_3_6_16_3_wgs_54_tpt_54_halfLds_sp_op_CI_CI_sbrr_dirReg: ; @fft_rtc_back_len864_factors_3_6_16_3_wgs_54_tpt_54_halfLds_sp_op_CI_CI_sbrr_dirReg
; %bb.0:
	s_clause 0x2
	s_load_b128 s[12:15], s[0:1], 0x18
	s_load_b128 s[4:7], s[0:1], 0x0
	;; [unrolled: 1-line block ×3, first 2 shown]
	v_mul_u32_u24_e32 v1, 0x4be, v0
	v_mov_b32_e32 v10, 0
	v_mov_b32_e32 v11, 0
	s_wait_kmcnt 0x0
	s_load_b64 s[18:19], s[12:13], 0x0
	s_load_b64 s[16:17], s[14:15], 0x0
	v_lshrrev_b32_e32 v2, 16, v1
	v_mov_b32_e32 v1, 0
	v_cmp_lt_u64_e64 s2, s[6:7], 2
	s_delay_alu instid0(VALU_DEP_2) | instskip(NEXT) | instid1(VALU_DEP_2)
	v_dual_mov_b32 v4, v1 :: v_dual_add_nc_u32 v3, ttmp9, v2
	s_and_b32 vcc_lo, exec_lo, s2
	s_cbranch_vccnz .LBB0_8
; %bb.1:
	s_load_b64 s[2:3], s[0:1], 0x10
	v_mov_b32_e32 v10, 0
	v_mov_b32_e32 v11, 0
	s_add_nc_u64 s[20:21], s[14:15], 8
	s_add_nc_u64 s[22:23], s[12:13], 8
	s_mov_b64 s[24:25], 1
	s_delay_alu instid0(VALU_DEP_1)
	v_dual_mov_b32 v21, v11 :: v_dual_mov_b32 v20, v10
	s_wait_kmcnt 0x0
	s_add_nc_u64 s[26:27], s[2:3], 8
	s_mov_b32 s3, 0
.LBB0_2:                                ; =>This Inner Loop Header: Depth=1
	s_load_b64 s[28:29], s[26:27], 0x0
                                        ; implicit-def: $vgpr22_vgpr23
	s_mov_b32 s2, exec_lo
	s_wait_kmcnt 0x0
	v_or_b32_e32 v2, s29, v4
	s_delay_alu instid0(VALU_DEP_1)
	v_cmpx_ne_u64_e32 0, v[1:2]
	s_wait_alu 0xfffe
	s_xor_b32 s30, exec_lo, s2
	s_cbranch_execz .LBB0_4
; %bb.3:                                ;   in Loop: Header=BB0_2 Depth=1
	s_cvt_f32_u32 s2, s28
	s_cvt_f32_u32 s31, s29
	s_sub_nc_u64 s[36:37], 0, s[28:29]
	s_wait_alu 0xfffe
	s_delay_alu instid0(SALU_CYCLE_1) | instskip(SKIP_1) | instid1(SALU_CYCLE_2)
	s_fmamk_f32 s2, s31, 0x4f800000, s2
	s_wait_alu 0xfffe
	v_s_rcp_f32 s2, s2
	s_delay_alu instid0(TRANS32_DEP_1) | instskip(SKIP_1) | instid1(SALU_CYCLE_2)
	s_mul_f32 s2, s2, 0x5f7ffffc
	s_wait_alu 0xfffe
	s_mul_f32 s31, s2, 0x2f800000
	s_wait_alu 0xfffe
	s_delay_alu instid0(SALU_CYCLE_2) | instskip(SKIP_1) | instid1(SALU_CYCLE_2)
	s_trunc_f32 s31, s31
	s_wait_alu 0xfffe
	s_fmamk_f32 s2, s31, 0xcf800000, s2
	s_cvt_u32_f32 s35, s31
	s_wait_alu 0xfffe
	s_delay_alu instid0(SALU_CYCLE_1) | instskip(SKIP_1) | instid1(SALU_CYCLE_2)
	s_cvt_u32_f32 s34, s2
	s_wait_alu 0xfffe
	s_mul_u64 s[38:39], s[36:37], s[34:35]
	s_wait_alu 0xfffe
	s_mul_hi_u32 s41, s34, s39
	s_mul_i32 s40, s34, s39
	s_mul_hi_u32 s2, s34, s38
	s_mul_i32 s33, s35, s38
	s_wait_alu 0xfffe
	s_add_nc_u64 s[40:41], s[2:3], s[40:41]
	s_mul_hi_u32 s31, s35, s38
	s_mul_hi_u32 s42, s35, s39
	s_add_co_u32 s2, s40, s33
	s_wait_alu 0xfffe
	s_add_co_ci_u32 s2, s41, s31
	s_mul_i32 s38, s35, s39
	s_add_co_ci_u32 s39, s42, 0
	s_wait_alu 0xfffe
	s_add_nc_u64 s[38:39], s[2:3], s[38:39]
	s_wait_alu 0xfffe
	v_add_co_u32 v2, s2, s34, s38
	s_delay_alu instid0(VALU_DEP_1) | instskip(SKIP_1) | instid1(VALU_DEP_1)
	s_cmp_lg_u32 s2, 0
	s_add_co_ci_u32 s35, s35, s39
	v_readfirstlane_b32 s34, v2
	s_wait_alu 0xfffe
	s_delay_alu instid0(VALU_DEP_1)
	s_mul_u64 s[36:37], s[36:37], s[34:35]
	s_wait_alu 0xfffe
	s_mul_hi_u32 s39, s34, s37
	s_mul_i32 s38, s34, s37
	s_mul_hi_u32 s2, s34, s36
	s_mul_i32 s33, s35, s36
	s_wait_alu 0xfffe
	s_add_nc_u64 s[38:39], s[2:3], s[38:39]
	s_mul_hi_u32 s31, s35, s36
	s_mul_hi_u32 s34, s35, s37
	s_wait_alu 0xfffe
	s_add_co_u32 s2, s38, s33
	s_add_co_ci_u32 s2, s39, s31
	s_mul_i32 s36, s35, s37
	s_add_co_ci_u32 s37, s34, 0
	s_wait_alu 0xfffe
	s_add_nc_u64 s[36:37], s[2:3], s[36:37]
	s_wait_alu 0xfffe
	v_add_co_u32 v2, s2, v2, s36
	s_delay_alu instid0(VALU_DEP_1) | instskip(SKIP_1) | instid1(VALU_DEP_1)
	s_cmp_lg_u32 s2, 0
	s_add_co_ci_u32 s2, s35, s37
	v_mul_hi_u32 v9, v3, v2
	s_wait_alu 0xfffe
	v_mad_co_u64_u32 v[5:6], null, v3, s2, 0
	v_mad_co_u64_u32 v[7:8], null, v4, v2, 0
	;; [unrolled: 1-line block ×3, first 2 shown]
	s_delay_alu instid0(VALU_DEP_3) | instskip(SKIP_1) | instid1(VALU_DEP_4)
	v_add_co_u32 v2, vcc_lo, v9, v5
	s_wait_alu 0xfffd
	v_add_co_ci_u32_e32 v5, vcc_lo, 0, v6, vcc_lo
	s_delay_alu instid0(VALU_DEP_2) | instskip(SKIP_1) | instid1(VALU_DEP_2)
	v_add_co_u32 v2, vcc_lo, v2, v7
	s_wait_alu 0xfffd
	v_add_co_ci_u32_e32 v2, vcc_lo, v5, v8, vcc_lo
	s_wait_alu 0xfffd
	v_add_co_ci_u32_e32 v5, vcc_lo, 0, v13, vcc_lo
	s_delay_alu instid0(VALU_DEP_2) | instskip(SKIP_1) | instid1(VALU_DEP_2)
	v_add_co_u32 v2, vcc_lo, v2, v12
	s_wait_alu 0xfffd
	v_add_co_ci_u32_e32 v7, vcc_lo, 0, v5, vcc_lo
	s_delay_alu instid0(VALU_DEP_2) | instskip(SKIP_1) | instid1(VALU_DEP_3)
	v_mul_lo_u32 v8, s29, v2
	v_mad_co_u64_u32 v[5:6], null, s28, v2, 0
	v_mul_lo_u32 v9, s28, v7
	s_delay_alu instid0(VALU_DEP_2) | instskip(NEXT) | instid1(VALU_DEP_2)
	v_sub_co_u32 v5, vcc_lo, v3, v5
	v_add3_u32 v6, v6, v9, v8
	s_delay_alu instid0(VALU_DEP_1) | instskip(SKIP_1) | instid1(VALU_DEP_1)
	v_sub_nc_u32_e32 v8, v4, v6
	s_wait_alu 0xfffd
	v_subrev_co_ci_u32_e64 v8, s2, s29, v8, vcc_lo
	v_add_co_u32 v9, s2, v2, 2
	s_wait_alu 0xf1ff
	v_add_co_ci_u32_e64 v12, s2, 0, v7, s2
	v_sub_co_u32 v13, s2, v5, s28
	v_sub_co_ci_u32_e32 v6, vcc_lo, v4, v6, vcc_lo
	s_wait_alu 0xf1ff
	v_subrev_co_ci_u32_e64 v8, s2, 0, v8, s2
	s_delay_alu instid0(VALU_DEP_3) | instskip(NEXT) | instid1(VALU_DEP_3)
	v_cmp_le_u32_e32 vcc_lo, s28, v13
	v_cmp_eq_u32_e64 s2, s29, v6
	s_wait_alu 0xfffd
	v_cndmask_b32_e64 v13, 0, -1, vcc_lo
	v_cmp_le_u32_e32 vcc_lo, s29, v8
	s_wait_alu 0xfffd
	v_cndmask_b32_e64 v14, 0, -1, vcc_lo
	v_cmp_le_u32_e32 vcc_lo, s28, v5
	;; [unrolled: 3-line block ×3, first 2 shown]
	s_wait_alu 0xfffd
	v_cndmask_b32_e64 v15, 0, -1, vcc_lo
	v_cmp_eq_u32_e32 vcc_lo, s29, v8
	s_wait_alu 0xf1ff
	s_delay_alu instid0(VALU_DEP_2)
	v_cndmask_b32_e64 v5, v15, v5, s2
	s_wait_alu 0xfffd
	v_cndmask_b32_e32 v8, v14, v13, vcc_lo
	v_add_co_u32 v13, vcc_lo, v2, 1
	s_wait_alu 0xfffd
	v_add_co_ci_u32_e32 v14, vcc_lo, 0, v7, vcc_lo
	s_delay_alu instid0(VALU_DEP_3) | instskip(SKIP_1) | instid1(VALU_DEP_2)
	v_cmp_ne_u32_e32 vcc_lo, 0, v8
	s_wait_alu 0xfffd
	v_cndmask_b32_e32 v6, v14, v12, vcc_lo
	v_cndmask_b32_e32 v8, v13, v9, vcc_lo
	v_cmp_ne_u32_e32 vcc_lo, 0, v5
	s_wait_alu 0xfffd
	s_delay_alu instid0(VALU_DEP_2)
	v_dual_cndmask_b32 v23, v7, v6 :: v_dual_cndmask_b32 v22, v2, v8
.LBB0_4:                                ;   in Loop: Header=BB0_2 Depth=1
	s_wait_alu 0xfffe
	s_and_not1_saveexec_b32 s2, s30
	s_cbranch_execz .LBB0_6
; %bb.5:                                ;   in Loop: Header=BB0_2 Depth=1
	v_cvt_f32_u32_e32 v2, s28
	s_sub_co_i32 s30, 0, s28
	v_mov_b32_e32 v23, v1
	s_delay_alu instid0(VALU_DEP_2) | instskip(NEXT) | instid1(TRANS32_DEP_1)
	v_rcp_iflag_f32_e32 v2, v2
	v_mul_f32_e32 v2, 0x4f7ffffe, v2
	s_delay_alu instid0(VALU_DEP_1) | instskip(SKIP_1) | instid1(VALU_DEP_1)
	v_cvt_u32_f32_e32 v2, v2
	s_wait_alu 0xfffe
	v_mul_lo_u32 v5, s30, v2
	s_delay_alu instid0(VALU_DEP_1) | instskip(NEXT) | instid1(VALU_DEP_1)
	v_mul_hi_u32 v5, v2, v5
	v_add_nc_u32_e32 v2, v2, v5
	s_delay_alu instid0(VALU_DEP_1) | instskip(NEXT) | instid1(VALU_DEP_1)
	v_mul_hi_u32 v2, v3, v2
	v_mul_lo_u32 v5, v2, s28
	v_add_nc_u32_e32 v6, 1, v2
	s_delay_alu instid0(VALU_DEP_2) | instskip(NEXT) | instid1(VALU_DEP_1)
	v_sub_nc_u32_e32 v5, v3, v5
	v_subrev_nc_u32_e32 v7, s28, v5
	v_cmp_le_u32_e32 vcc_lo, s28, v5
	s_wait_alu 0xfffd
	s_delay_alu instid0(VALU_DEP_2) | instskip(NEXT) | instid1(VALU_DEP_1)
	v_dual_cndmask_b32 v5, v5, v7 :: v_dual_cndmask_b32 v2, v2, v6
	v_cmp_le_u32_e32 vcc_lo, s28, v5
	s_delay_alu instid0(VALU_DEP_2) | instskip(SKIP_1) | instid1(VALU_DEP_1)
	v_add_nc_u32_e32 v6, 1, v2
	s_wait_alu 0xfffd
	v_cndmask_b32_e32 v22, v2, v6, vcc_lo
.LBB0_6:                                ;   in Loop: Header=BB0_2 Depth=1
	s_wait_alu 0xfffe
	s_or_b32 exec_lo, exec_lo, s2
	v_mul_lo_u32 v2, v23, s28
	s_delay_alu instid0(VALU_DEP_2)
	v_mul_lo_u32 v7, v22, s29
	s_load_b64 s[30:31], s[22:23], 0x0
	v_mad_co_u64_u32 v[5:6], null, v22, s28, 0
	s_load_b64 s[28:29], s[20:21], 0x0
	s_add_nc_u64 s[24:25], s[24:25], 1
	s_add_nc_u64 s[20:21], s[20:21], 8
	s_wait_alu 0xfffe
	v_cmp_ge_u64_e64 s2, s[24:25], s[6:7]
	s_add_nc_u64 s[22:23], s[22:23], 8
	s_add_nc_u64 s[26:27], s[26:27], 8
	v_add3_u32 v2, v6, v7, v2
	v_sub_co_u32 v3, vcc_lo, v3, v5
	s_wait_alu 0xfffd
	s_delay_alu instid0(VALU_DEP_2) | instskip(SKIP_2) | instid1(VALU_DEP_1)
	v_sub_co_ci_u32_e32 v2, vcc_lo, v4, v2, vcc_lo
	s_and_b32 vcc_lo, exec_lo, s2
	s_wait_kmcnt 0x0
	v_mul_lo_u32 v4, s30, v2
	v_mul_lo_u32 v5, s31, v3
	v_mad_co_u64_u32 v[10:11], null, s30, v3, v[10:11]
	v_mul_lo_u32 v2, s28, v2
	v_mul_lo_u32 v6, s29, v3
	v_mad_co_u64_u32 v[20:21], null, s28, v3, v[20:21]
	s_delay_alu instid0(VALU_DEP_4) | instskip(NEXT) | instid1(VALU_DEP_2)
	v_add3_u32 v11, v5, v11, v4
	v_add3_u32 v21, v6, v21, v2
	s_wait_alu 0xfffe
	s_cbranch_vccnz .LBB0_9
; %bb.7:                                ;   in Loop: Header=BB0_2 Depth=1
	v_dual_mov_b32 v3, v22 :: v_dual_mov_b32 v4, v23
	s_branch .LBB0_2
.LBB0_8:
	v_dual_mov_b32 v21, v11 :: v_dual_mov_b32 v20, v10
	s_delay_alu instid0(VALU_DEP_2)
	v_dual_mov_b32 v23, v4 :: v_dual_mov_b32 v22, v3
.LBB0_9:
	s_load_b64 s[2:3], s[0:1], 0x28
	v_mul_hi_u32 v2, 0x4bda130, v0
	s_lshl_b64 s[6:7], s[6:7], 3
                                        ; implicit-def: $vgpr54
                                        ; implicit-def: $vgpr55
                                        ; implicit-def: $vgpr56
                                        ; implicit-def: $vgpr57
                                        ; implicit-def: $vgpr58
	s_wait_kmcnt 0x0
	v_cmp_gt_u64_e64 s0, s[2:3], v[22:23]
	v_cmp_le_u64_e32 vcc_lo, s[2:3], v[22:23]
	s_wait_alu 0xfffe
	s_add_nc_u64 s[2:3], s[14:15], s[6:7]
	s_and_saveexec_b32 s1, vcc_lo
	s_wait_alu 0xfffe
	s_xor_b32 s1, exec_lo, s1
; %bb.10:
	v_mul_u32_u24_e32 v1, 54, v2
                                        ; implicit-def: $vgpr2
                                        ; implicit-def: $vgpr10_vgpr11
	s_delay_alu instid0(VALU_DEP_1) | instskip(NEXT) | instid1(VALU_DEP_1)
	v_sub_nc_u32_e32 v54, v0, v1
                                        ; implicit-def: $vgpr0
	v_add_nc_u32_e32 v55, 54, v54
	v_add_nc_u32_e32 v56, 0x6c, v54
	;; [unrolled: 1-line block ×4, first 2 shown]
; %bb.11:
	s_wait_alu 0xfffe
	s_or_saveexec_b32 s1, s1
	s_load_b64 s[2:3], s[2:3], 0x0
                                        ; implicit-def: $vgpr7
                                        ; implicit-def: $vgpr19
                                        ; implicit-def: $vgpr13
                                        ; implicit-def: $vgpr5
                                        ; implicit-def: $vgpr29
                                        ; implicit-def: $vgpr27
                                        ; implicit-def: $vgpr9
                                        ; implicit-def: $vgpr25
                                        ; implicit-def: $vgpr47
                                        ; implicit-def: $vgpr31
                                        ; implicit-def: $vgpr49
                                        ; implicit-def: $vgpr45
                                        ; implicit-def: $vgpr1
                                        ; implicit-def: $vgpr43
                                        ; implicit-def: $vgpr41
                                        ; implicit-def: $vgpr53
                                        ; implicit-def: $vgpr51
                                        ; implicit-def: $vgpr3
	s_xor_b32 exec_lo, exec_lo, s1
	s_cbranch_execz .LBB0_15
; %bb.12:
	s_add_nc_u64 s[6:7], s[12:13], s[6:7]
	v_mul_u32_u24_e32 v1, 54, v2
	s_load_b64 s[6:7], s[6:7], 0x0
                                        ; implicit-def: $vgpr50
                                        ; implicit-def: $vgpr52
	s_delay_alu instid0(VALU_DEP_1) | instskip(SKIP_1) | instid1(VALU_DEP_2)
	v_sub_nc_u32_e32 v54, v0, v1
	v_lshlrev_b64_e32 v[0:1], 3, v[10:11]
	v_add_nc_u32_e32 v10, 0x120, v54
	v_mad_co_u64_u32 v[2:3], null, s18, v54, 0
	v_or_b32_e32 v18, 0x240, v54
	v_add_nc_u32_e32 v55, 54, v54
	s_delay_alu instid0(VALU_DEP_4) | instskip(SKIP_1) | instid1(VALU_DEP_4)
	v_mad_co_u64_u32 v[4:5], null, s18, v10, 0
	v_add_nc_u32_e32 v56, 0x6c, v54
	v_mad_co_u64_u32 v[6:7], null, s18, v18, 0
	s_delay_alu instid0(VALU_DEP_4)
	v_mad_co_u64_u32 v[11:12], null, s18, v55, 0
	s_wait_kmcnt 0x0
	v_mul_lo_u32 v16, s7, v22
	v_mul_lo_u32 v17, s6, v23
	v_mad_co_u64_u32 v[8:9], null, s6, v22, 0
	v_mad_co_u64_u32 v[13:14], null, s19, v54, v[3:4]
	v_dual_mov_b32 v3, v5 :: v_dual_add_nc_u32 v24, 0x156, v54
	v_mov_b32_e32 v5, v7
	s_mov_b32 s6, exec_lo
	s_delay_alu instid0(VALU_DEP_4) | instskip(NEXT) | instid1(VALU_DEP_3)
	v_add3_u32 v9, v9, v17, v16
	v_mad_co_u64_u32 v[14:15], null, s18, v24, 0
	v_mov_b32_e32 v7, v12
	v_mad_co_u64_u32 v[16:17], null, s19, v10, v[3:4]
	s_delay_alu instid0(VALU_DEP_4) | instskip(SKIP_3) | instid1(VALU_DEP_4)
	v_lshlrev_b64_e32 v[8:9], 3, v[8:9]
	v_mov_b32_e32 v3, v13
	v_mad_co_u64_u32 v[12:13], null, s19, v18, v[5:6]
	v_add_nc_u32_e32 v58, 0xd8, v54
	v_mad_co_u64_u32 v[17:18], null, s19, v55, v[7:8]
	s_delay_alu instid0(VALU_DEP_4) | instskip(SKIP_4) | instid1(VALU_DEP_3)
	v_lshlrev_b64_e32 v[18:19], 3, v[2:3]
	v_add_co_u32 v2, vcc_lo, s8, v8
	s_wait_alu 0xfffd
	v_add_co_ci_u32_e32 v7, vcc_lo, s9, v9, vcc_lo
	v_mov_b32_e32 v5, v16
	v_add_co_u32 v3, vcc_lo, v2, v0
	s_wait_alu 0xfffd
	s_delay_alu instid0(VALU_DEP_3) | instskip(NEXT) | instid1(VALU_DEP_3)
	v_add_co_ci_u32_e32 v10, vcc_lo, v7, v1, vcc_lo
	v_lshlrev_b64_e32 v[0:1], 3, v[4:5]
	s_delay_alu instid0(VALU_DEP_3)
	v_add_co_u32 v4, vcc_lo, v3, v18
	v_dual_mov_b32 v7, v12 :: v_dual_add_nc_u32 v18, 0x276, v54
	v_mov_b32_e32 v12, v17
	v_mov_b32_e32 v2, v15
	s_wait_alu 0xfffd
	v_add_co_ci_u32_e32 v5, vcc_lo, v10, v19, vcc_lo
	v_mad_co_u64_u32 v[16:17], null, s18, v18, 0
	v_lshlrev_b64_e32 v[8:9], 3, v[11:12]
	v_mad_co_u64_u32 v[11:12], null, s19, v24, v[2:3]
	v_mad_co_u64_u32 v[24:25], null, s18, v56, 0
	v_add_co_u32 v0, vcc_lo, v3, v0
	v_mov_b32_e32 v2, v17
	v_lshlrev_b64_e32 v[6:7], 3, v[6:7]
	s_wait_alu 0xfffd
	v_add_co_ci_u32_e32 v1, vcc_lo, v10, v1, vcc_lo
	v_mov_b32_e32 v15, v11
	v_add_nc_u32_e32 v11, 0x18c, v54
	v_mad_co_u64_u32 v[17:18], null, s19, v18, v[2:3]
	v_add_co_u32 v12, vcc_lo, v3, v6
	s_wait_alu 0xfffd
	v_add_co_ci_u32_e32 v13, vcc_lo, v10, v7, vcc_lo
	v_add_co_u32 v8, vcc_lo, v3, v8
	v_mov_b32_e32 v2, v25
	s_wait_alu 0xfffd
	v_add_co_ci_u32_e32 v9, vcc_lo, v10, v9, vcc_lo
	s_clause 0x3
	global_load_b64 v[6:7], v[4:5], off
	global_load_b64 v[18:19], v[0:1], off
	;; [unrolled: 1-line block ×4, first 2 shown]
	v_mad_co_u64_u32 v[8:9], null, s18, v11, 0
	v_lshlrev_b64_e32 v[0:1], 3, v[14:15]
	v_mad_co_u64_u32 v[14:15], null, s19, v56, v[2:3]
	v_add_nc_u32_e32 v28, 0x2ac, v54
	v_lshlrev_b64_e32 v[15:16], 3, v[16:17]
	v_mov_b32_e32 v2, v9
	v_add_co_u32 v0, vcc_lo, v3, v0
	v_mov_b32_e32 v25, v14
	v_mad_co_u64_u32 v[30:31], null, s18, v28, 0
	s_delay_alu instid0(VALU_DEP_4)
	v_mad_co_u64_u32 v[26:27], null, s19, v11, v[2:3]
	v_add_nc_u32_e32 v57, 0xa2, v54
	s_wait_alu 0xfffd
	v_add_co_ci_u32_e32 v1, vcc_lo, v10, v1, vcc_lo
	v_add_co_u32 v14, vcc_lo, v3, v15
	v_mov_b32_e32 v2, v31
	v_mad_co_u64_u32 v[32:33], null, s18, v57, 0
	v_mov_b32_e32 v9, v26
	s_wait_alu 0xfffd
	v_add_co_ci_u32_e32 v15, vcc_lo, v10, v16, vcc_lo
	v_lshlrev_b64_e32 v[16:17], 3, v[24:25]
	v_mad_co_u64_u32 v[24:25], null, s19, v28, v[2:3]
	v_mov_b32_e32 v2, v33
	v_lshlrev_b64_e32 v[8:9], 3, v[8:9]
	v_add_nc_u32_e32 v11, 0x1c2, v54
	v_add_co_u32 v16, vcc_lo, v3, v16
	s_wait_alu 0xfffd
	v_add_co_ci_u32_e32 v17, vcc_lo, v10, v17, vcc_lo
	s_delay_alu instid0(VALU_DEP_4)
	v_add_co_u32 v33, vcc_lo, v3, v8
	v_mad_co_u64_u32 v[35:36], null, s19, v57, v[2:3]
	v_mad_co_u64_u32 v[36:37], null, s18, v11, 0
	s_wait_alu 0xfffd
	v_add_co_ci_u32_e32 v34, vcc_lo, v10, v9, vcc_lo
	v_mov_b32_e32 v31, v24
	s_clause 0x3
	global_load_b64 v[28:29], v[0:1], off
	global_load_b64 v[26:27], v[14:15], off
	;; [unrolled: 1-line block ×4, first 2 shown]
	v_dual_mov_b32 v33, v35 :: v_dual_add_nc_u32 v34, 0x2e2, v54
	v_mov_b32_e32 v2, v37
	v_lshlrev_b64_e32 v[0:1], 3, v[30:31]
	v_mad_co_u64_u32 v[30:31], null, s18, v58, 0
	s_delay_alu instid0(VALU_DEP_4) | instskip(NEXT) | instid1(VALU_DEP_4)
	v_mad_co_u64_u32 v[14:15], null, s18, v34, 0
	v_mad_co_u64_u32 v[16:17], null, s19, v11, v[2:3]
	v_add_nc_u32_e32 v11, 0x1f8, v54
	v_lshlrev_b64_e32 v[32:33], 3, v[32:33]
	v_add_co_u32 v0, vcc_lo, v3, v0
	v_mov_b32_e32 v2, v15
	s_wait_alu 0xfffd
	v_add_co_ci_u32_e32 v1, vcc_lo, v10, v1, vcc_lo
	v_mov_b32_e32 v37, v16
	v_add_co_u32 v32, vcc_lo, v3, v32
	v_mad_co_u64_u32 v[15:16], null, s19, v34, v[2:3]
	v_mov_b32_e32 v2, v31
	v_mad_co_u64_u32 v[16:17], null, s18, v11, 0
	s_wait_alu 0xfffd
	v_add_co_ci_u32_e32 v33, vcc_lo, v10, v33, vcc_lo
	s_delay_alu instid0(VALU_DEP_3)
	v_mad_co_u64_u32 v[34:35], null, s19, v58, v[2:3]
	v_add_nc_u32_e32 v42, 0x318, v54
	v_lshlrev_b64_e32 v[35:36], 3, v[36:37]
	v_mov_b32_e32 v2, v17
	v_lshlrev_b64_e32 v[14:15], 3, v[14:15]
	v_mov_b32_e32 v31, v34
	v_mad_co_u64_u32 v[38:39], null, s18, v42, 0
	s_delay_alu instid0(VALU_DEP_4) | instskip(SKIP_3) | instid1(VALU_DEP_4)
	v_mad_co_u64_u32 v[40:41], null, s19, v11, v[2:3]
	v_add_co_u32 v34, vcc_lo, v3, v35
	s_wait_alu 0xfffd
	v_add_co_ci_u32_e32 v35, vcc_lo, v10, v36, vcc_lo
	v_mov_b32_e32 v2, v39
	v_lshlrev_b64_e32 v[30:31], 3, v[30:31]
	v_mov_b32_e32 v17, v40
	v_add_co_u32 v14, vcc_lo, v3, v14
	s_delay_alu instid0(VALU_DEP_4) | instskip(SKIP_3) | instid1(VALU_DEP_3)
	v_mad_co_u64_u32 v[36:37], null, s19, v42, v[2:3]
	s_wait_alu 0xfffd
	v_add_co_ci_u32_e32 v15, vcc_lo, v10, v15, vcc_lo
	v_lshlrev_b64_e32 v[16:17], 3, v[16:17]
                                        ; implicit-def: $vgpr2
	v_mov_b32_e32 v39, v36
	v_add_co_u32 v36, vcc_lo, v3, v30
	s_wait_alu 0xfffd
	v_add_co_ci_u32_e32 v37, vcc_lo, v10, v31, vcc_lo
	s_delay_alu instid0(VALU_DEP_3) | instskip(SKIP_3) | instid1(VALU_DEP_3)
	v_lshlrev_b64_e32 v[30:31], 3, v[38:39]
	v_add_co_u32 v16, vcc_lo, v3, v16
	s_wait_alu 0xfffd
	v_add_co_ci_u32_e32 v17, vcc_lo, v10, v17, vcc_lo
	v_add_co_u32 v38, vcc_lo, v3, v30
	s_wait_alu 0xfffd
	v_add_co_ci_u32_e32 v39, vcc_lo, v10, v31, vcc_lo
	s_clause 0x6
	global_load_b64 v[46:47], v[0:1], off
	global_load_b64 v[30:31], v[32:33], off
	;; [unrolled: 1-line block ×7, first 2 shown]
	v_cmpx_gt_u32_e32 18, v54
	s_cbranch_execz .LBB0_14
; %bb.13:
	v_add_nc_u32_e32 v35, 0x22e, v54
	v_add_nc_u32_e32 v36, 0x34e, v54
	s_delay_alu instid0(VALU_DEP_2) | instskip(SKIP_1) | instid1(VALU_DEP_3)
	v_mad_co_u64_u32 v[16:17], null, s18, v35, 0
	v_add_nc_u32_e32 v34, 0x10e, v54
	v_mad_co_u64_u32 v[32:33], null, s18, v36, 0
	s_delay_alu instid0(VALU_DEP_3) | instskip(NEXT) | instid1(VALU_DEP_3)
	v_mov_b32_e32 v11, v17
	v_mad_co_u64_u32 v[14:15], null, s18, v34, 0
	s_delay_alu instid0(VALU_DEP_1) | instskip(NEXT) | instid1(VALU_DEP_1)
	v_dual_mov_b32 v2, v15 :: v_dual_mov_b32 v15, v33
	v_mad_co_u64_u32 v[33:34], null, s19, v34, v[2:3]
	s_wait_loadcnt 0xc
	v_mad_co_u64_u32 v[34:35], null, s19, v35, v[11:12]
	s_delay_alu instid0(VALU_DEP_3) | instskip(NEXT) | instid1(VALU_DEP_3)
	v_mad_co_u64_u32 v[35:36], null, s19, v36, v[15:16]
	v_mov_b32_e32 v15, v33
	s_delay_alu instid0(VALU_DEP_3) | instskip(NEXT) | instid1(VALU_DEP_3)
	v_mov_b32_e32 v17, v34
	v_mov_b32_e32 v33, v35
	s_delay_alu instid0(VALU_DEP_3) | instskip(NEXT) | instid1(VALU_DEP_3)
	v_lshlrev_b64_e32 v[14:15], 3, v[14:15]
	v_lshlrev_b64_e32 v[16:17], 3, v[16:17]
	s_delay_alu instid0(VALU_DEP_3) | instskip(NEXT) | instid1(VALU_DEP_3)
	v_lshlrev_b64_e32 v[32:33], 3, v[32:33]
	v_add_co_u32 v14, vcc_lo, v3, v14
	s_wait_alu 0xfffd
	s_delay_alu instid0(VALU_DEP_4) | instskip(NEXT) | instid1(VALU_DEP_4)
	v_add_co_ci_u32_e32 v15, vcc_lo, v10, v15, vcc_lo
	v_add_co_u32 v16, vcc_lo, v3, v16
	s_wait_alu 0xfffd
	v_add_co_ci_u32_e32 v17, vcc_lo, v10, v17, vcc_lo
	v_add_co_u32 v32, vcc_lo, v3, v32
	s_wait_alu 0xfffd
	v_add_co_ci_u32_e32 v33, vcc_lo, v10, v33, vcc_lo
	s_clause 0x2
	global_load_b64 v[2:3], v[14:15], off
	global_load_b64 v[50:51], v[16:17], off
	;; [unrolled: 1-line block ×3, first 2 shown]
.LBB0_14:
	s_wait_alu 0xfffe
	s_or_b32 exec_lo, exec_lo, s6
.LBB0_15:
	s_delay_alu instid0(SALU_CYCLE_1)
	s_or_b32 exec_lo, exec_lo, s1
	s_wait_loadcnt 0x9
	v_dual_add_f32 v10, v18, v12 :: v_dual_add_f32 v15, v28, v26
	v_dual_add_f32 v11, v6, v18 :: v_dual_sub_f32 v14, v19, v13
	s_wait_loadcnt 0x7
	v_dual_sub_f32 v16, v29, v27 :: v_dual_add_f32 v17, v8, v24
	s_delay_alu instid0(VALU_DEP_2) | instskip(SKIP_2) | instid1(VALU_DEP_3)
	v_dual_fmac_f32 v6, -0.5, v10 :: v_dual_add_f32 v11, v11, v12
	v_add_f32_e32 v10, v4, v28
	s_wait_loadcnt 0x6
	v_dual_fmac_f32 v4, -0.5, v15 :: v_dual_add_f32 v33, v17, v46
	s_delay_alu instid0(VALU_DEP_3)
	v_fmamk_f32 v15, v14, 0xbf5db3d7, v6
	s_wait_loadcnt 0x4
	v_dual_fmac_f32 v6, 0x3f5db3d7, v14 :: v_dual_add_f32 v17, v30, v48
	s_wait_loadcnt 0x0
	v_dual_add_f32 v14, v24, v46 :: v_dual_sub_f32 v37, v43, v41
	v_fmamk_f32 v32, v16, 0xbf5db3d7, v4
	v_fmac_f32_e32 v4, 0x3f5db3d7, v16
	v_sub_f32_e32 v38, v51, v53
	v_add_f32_e32 v16, v48, v44
	v_fmac_f32_e32 v8, -0.5, v14
	v_sub_f32_e32 v14, v25, v47
	v_dual_add_f32 v10, v10, v26 :: v_dual_add_f32 v35, v17, v44
	s_delay_alu instid0(VALU_DEP_4) | instskip(SKIP_1) | instid1(VALU_DEP_4)
	v_fmac_f32_e32 v30, -0.5, v16
	v_sub_f32_e32 v16, v49, v45
	v_fmamk_f32 v34, v14, 0xbf5db3d7, v8
	v_fmac_f32_e32 v8, 0x3f5db3d7, v14
	v_dual_add_f32 v14, v42, v40 :: v_dual_add_f32 v17, v0, v42
	s_delay_alu instid0(VALU_DEP_4) | instskip(SKIP_2) | instid1(VALU_DEP_4)
	v_fmamk_f32 v36, v16, 0xbf5db3d7, v30
	v_fmac_f32_e32 v30, 0x3f5db3d7, v16
	v_add_f32_e32 v16, v52, v50
	v_fmac_f32_e32 v0, -0.5, v14
	v_dual_add_f32 v60, v17, v40 :: v_dual_add_f32 v17, v50, v2
	v_mad_u32_u24 v64, v54, 12, 0
	s_delay_alu instid0(VALU_DEP_4) | instskip(SKIP_3) | instid1(VALU_DEP_4)
	v_fmac_f32_e32 v2, -0.5, v16
	v_mad_i32_i24 v63, v55, 12, 0
	v_fmamk_f32 v14, v37, 0xbf5db3d7, v0
	v_fmac_f32_e32 v0, 0x3f5db3d7, v37
	v_dual_add_f32 v16, v52, v17 :: v_dual_fmamk_f32 v17, v38, 0xbf5db3d7, v2
	v_fmac_f32_e32 v2, 0x3f5db3d7, v38
	ds_store_2addr_b32 v64, v11, v15 offset1:1
	ds_store_b32 v64, v6 offset:8
	v_mad_i32_i24 v62, v56, 12, 0
	ds_store_2addr_b32 v63, v10, v32 offset1:1
	ds_store_b32 v63, v4 offset:8
	v_mad_i32_i24 v4, v57, 12, 0
	v_cmp_gt_u32_e32 vcc_lo, 18, v54
	v_mad_i32_i24 v6, v58, 12, 0
	ds_store_2addr_b32 v62, v33, v34 offset1:1
	ds_store_b32 v62, v8 offset:8
	ds_store_2addr_b32 v4, v35, v36 offset1:1
	ds_store_b32 v4, v30 offset:8
	;; [unrolled: 2-line block ×3, first 2 shown]
	s_and_saveexec_b32 s1, vcc_lo
	s_cbranch_execz .LBB0_17
; %bb.16:
	v_add_nc_u32_e32 v4, 0xca8, v64
	ds_store_2addr_b32 v4, v16, v17 offset1:1
	ds_store_b32 v64, v2 offset:3248
.LBB0_17:
	s_wait_alu 0xfffe
	s_or_b32 exec_lo, exec_lo, s1
	v_lshlrev_b32_e32 v4, 3, v54
	v_lshlrev_b32_e32 v6, 3, v55
	global_wb scope:SCOPE_SE
	s_wait_dscnt 0x0
	s_wait_kmcnt 0x0
	s_barrier_signal -1
	s_barrier_wait -1
	v_sub_nc_u32_e32 v59, v64, v4
	global_inv scope:SCOPE_SE
	v_sub_nc_u32_e32 v4, v63, v6
	v_cmp_gt_u32_e64 s1, 36, v54
	v_lshlrev_b32_e32 v65, 3, v56
	v_add_nc_u32_e32 v8, 0x200, v59
	v_add_nc_u32_e32 v15, 0x400, v59
	;; [unrolled: 1-line block ×4, first 2 shown]
	ds_load_2addr_b32 v[10:11], v59 offset1:144
	ds_load_2addr_b32 v[38:39], v8 offset0:70 offset1:160
	ds_load_2addr_b32 v[36:37], v15 offset0:86 offset1:176
	;; [unrolled: 1-line block ×4, first 2 shown]
	ds_load_b32 v30, v4
	ds_load_b32 v61, v59 offset:3096
	v_mul_i32_i24_e32 v8, 12, v57
	v_mul_i32_i24_e32 v4, 12, v58
	s_and_saveexec_b32 s6, s1
	s_cbranch_execz .LBB0_19
; %bb.18:
	v_add_nc_u32_e32 v0, 0x300, v59
	v_sub_nc_u32_e32 v2, v62, v65
	ds_load_2addr_b32 v[14:15], v0 offset0:60 offset1:204
	ds_load_2addr_b32 v[16:17], v66 offset0:28 offset1:172
	ds_load_b32 v60, v2
	ds_load_b32 v2, v59 offset:3312
	s_wait_dscnt 0x3
	v_mov_b32_e32 v0, v15
.LBB0_19:
	s_wait_alu 0xfffe
	s_or_b32 exec_lo, exec_lo, s6
	v_dual_add_f32 v15, v19, v13 :: v_dual_sub_f32 v12, v18, v12
	v_sub_nc_u32_e32 v66, 0, v6
	v_add_f32_e32 v6, v7, v19
	v_dual_add_f32 v18, v29, v27 :: v_dual_sub_f32 v19, v28, v26
	s_delay_alu instid0(VALU_DEP_4) | instskip(SKIP_1) | instid1(VALU_DEP_3)
	v_fmac_f32_e32 v7, -0.5, v15
	v_add_f32_e32 v15, v5, v29
	v_dual_add_f32 v26, v6, v13 :: v_dual_fmac_f32 v5, -0.5, v18
	v_add_f32_e32 v6, v25, v47
	s_delay_alu instid0(VALU_DEP_3) | instskip(SKIP_1) | instid1(VALU_DEP_4)
	v_dual_fmamk_f32 v18, v12, 0x3f5db3d7, v7 :: v_dual_add_f32 v27, v15, v27
	v_dual_fmac_f32 v7, 0xbf5db3d7, v12 :: v_dual_add_f32 v12, v9, v25
	v_dual_fmamk_f32 v28, v19, 0x3f5db3d7, v5 :: v_dual_add_f32 v13, v49, v45
	v_fmac_f32_e32 v5, 0xbf5db3d7, v19
	v_fmac_f32_e32 v9, -0.5, v6
	v_sub_f32_e32 v6, v24, v46
	v_dual_add_f32 v19, v12, v47 :: v_dual_add_f32 v12, v31, v49
	v_fmac_f32_e32 v31, -0.5, v13
	s_delay_alu instid0(VALU_DEP_3) | instskip(SKIP_1) | instid1(VALU_DEP_4)
	v_dual_sub_f32 v13, v48, v44 :: v_dual_fmamk_f32 v24, v6, 0x3f5db3d7, v9
	v_dual_fmac_f32 v9, 0xbf5db3d7, v6 :: v_dual_sub_f32 v40, v42, v40
	v_dual_add_f32 v25, v12, v45 :: v_dual_add_f32 v42, v51, v3
	v_add_f32_e32 v6, v43, v41
	v_add_f32_e32 v12, v53, v51
	v_dual_fmamk_f32 v29, v13, 0x3f5db3d7, v31 :: v_dual_add_nc_u32 v4, 0, v4
	v_fmac_f32_e32 v31, 0xbf5db3d7, v13
	v_add_f32_e32 v13, v1, v43
	v_fmac_f32_e32 v1, -0.5, v6
	v_dual_fmac_f32 v3, -0.5, v12 :: v_dual_add_nc_u32 v48, 0x10e, v54
	v_dual_sub_f32 v43, v50, v52 :: v_dual_add_f32 v12, v53, v42
	s_delay_alu instid0(VALU_DEP_3) | instskip(SKIP_1) | instid1(VALU_DEP_3)
	v_dual_fmamk_f32 v6, v40, 0x3f5db3d7, v1 :: v_dual_add_f32 v15, v13, v41
	v_fmac_f32_e32 v1, 0xbf5db3d7, v40
	v_fmamk_f32 v13, v43, 0x3f5db3d7, v3
	v_fmac_f32_e32 v3, 0xbf5db3d7, v43
	global_wb scope:SCOPE_SE
	s_wait_dscnt 0x0
	s_barrier_signal -1
	s_barrier_wait -1
	global_inv scope:SCOPE_SE
	ds_store_2addr_b32 v64, v26, v18 offset1:1
	ds_store_b32 v64, v7 offset:8
	v_add_nc_u32_e32 v7, 0, v8
	ds_store_2addr_b32 v63, v27, v28 offset1:1
	ds_store_b32 v63, v5 offset:8
	ds_store_2addr_b32 v62, v19, v24 offset1:1
	ds_store_b32 v62, v9 offset:8
	;; [unrolled: 2-line block ×4, first 2 shown]
	s_and_saveexec_b32 s6, vcc_lo
	s_cbranch_execz .LBB0_21
; %bb.20:
	v_mad_u32_u24 v4, v48, 12, 0
	ds_store_2addr_b32 v4, v12, v13 offset1:1
	ds_store_b32 v4, v3 offset:8
.LBB0_21:
	s_wait_alu 0xfffe
	s_or_b32 exec_lo, exec_lo, s6
	v_add_nc_u32_e32 v7, 0x200, v59
	v_add_nc_u32_e32 v8, 0x400, v59
	;; [unrolled: 1-line block ×5, first 2 shown]
	global_wb scope:SCOPE_SE
	s_wait_dscnt 0x0
	s_barrier_signal -1
	s_barrier_wait -1
	global_inv scope:SCOPE_SE
	ds_load_2addr_b32 v[4:5], v59 offset1:144
	ds_load_2addr_b32 v[26:27], v7 offset0:70 offset1:160
	ds_load_2addr_b32 v[24:25], v8 offset0:86 offset1:176
	;; [unrolled: 1-line block ×4, first 2 shown]
	ds_load_b32 v29, v53
	ds_load_b32 v31, v59 offset:3096
	s_and_saveexec_b32 s6, s1
	s_cbranch_execz .LBB0_23
; %bb.22:
	v_add_nc_u32_e32 v1, 0x300, v59
	v_sub_nc_u32_e32 v3, v62, v65
	ds_load_2addr_b32 v[6:7], v1 offset0:60 offset1:204
	ds_load_2addr_b32 v[12:13], v28 offset0:28 offset1:172
	ds_load_b32 v15, v3
	ds_load_b32 v3, v59 offset:3312
	s_wait_dscnt 0x3
	v_mov_b32_e32 v1, v7
.LBB0_23:
	s_wait_alu 0xfffe
	s_or_b32 exec_lo, exec_lo, s6
	v_and_b32_e32 v28, 0xff, v54
	s_delay_alu instid0(VALU_DEP_1) | instskip(NEXT) | instid1(VALU_DEP_1)
	v_mul_lo_u16 v7, 0xab, v28
	v_lshrrev_b16 v7, 9, v7
	s_delay_alu instid0(VALU_DEP_1) | instskip(NEXT) | instid1(VALU_DEP_1)
	v_mul_lo_u16 v41, v7, 3
	v_sub_nc_u16 v41, v54, v41
	s_delay_alu instid0(VALU_DEP_1) | instskip(NEXT) | instid1(VALU_DEP_1)
	v_and_b32_e32 v41, 0xff, v41
	v_mul_u32_u24_e32 v44, 5, v41
	s_delay_alu instid0(VALU_DEP_1)
	v_lshlrev_b32_e32 v44, 3, v44
	s_clause 0x1
	global_load_b128 v[62:65], v44, s[4:5]
	global_load_b128 v[66:69], v44, s[4:5] offset:16
	v_and_b32_e32 v40, 0xff, v55
	v_and_b32_e32 v42, 0xff, v56
	s_delay_alu instid0(VALU_DEP_2) | instskip(NEXT) | instid1(VALU_DEP_2)
	v_mul_lo_u16 v40, 0xab, v40
	v_mul_lo_u16 v42, 0xab, v42
	s_delay_alu instid0(VALU_DEP_2) | instskip(NEXT) | instid1(VALU_DEP_2)
	v_lshrrev_b16 v40, 9, v40
	v_lshrrev_b16 v42, 9, v42
	s_delay_alu instid0(VALU_DEP_2) | instskip(NEXT) | instid1(VALU_DEP_2)
	v_mul_lo_u16 v43, v40, 3
	v_mul_lo_u16 v45, v42, 3
	s_delay_alu instid0(VALU_DEP_2) | instskip(NEXT) | instid1(VALU_DEP_2)
	v_sub_nc_u16 v43, v55, v43
	v_sub_nc_u16 v45, v56, v45
	s_delay_alu instid0(VALU_DEP_2) | instskip(NEXT) | instid1(VALU_DEP_2)
	v_and_b32_e32 v43, 0xff, v43
	v_and_b32_e32 v45, 0xff, v45
	s_delay_alu instid0(VALU_DEP_2) | instskip(NEXT) | instid1(VALU_DEP_1)
	v_mul_u32_u24_e32 v46, 5, v43
	v_lshlrev_b32_e32 v46, 3, v46
	s_wait_loadcnt 0x1
	v_mul_f32_e32 v52, v11, v63
	s_wait_loadcnt_dscnt 0x3
	v_mul_f32_e32 v51, v19, v69
	s_clause 0x1
	global_load_b64 v[49:50], v44, s[4:5] offset:32
	global_load_b128 v[70:73], v46, s[4:5]
	v_mul_u32_u24_e32 v44, 5, v45
	global_load_b128 v[74:77], v46, s[4:5] offset:16
	v_mul_f32_e32 v69, v35, v69
	v_and_b32_e32 v7, 0xffff, v7
	v_and_b32_e32 v40, 0xffff, v40
	v_lshlrev_b32_e32 v44, 3, v44
	s_clause 0x3
	global_load_b64 v[86:87], v46, s[4:5] offset:32
	global_load_b128 v[78:81], v44, s[4:5]
	global_load_b128 v[82:85], v44, s[4:5] offset:16
	global_load_b64 v[88:89], v44, s[4:5] offset:32
	v_lshlrev_b32_e32 v46, 2, v41
	v_and_b32_e32 v41, 0xffff, v42
	v_fma_f32 v52, v5, v62, -v52
	global_wb scope:SCOPE_SE
	s_wait_loadcnt_dscnt 0x0
	s_barrier_signal -1
	s_barrier_wait -1
	global_inv scope:SCOPE_SE
	v_mul_f32_e32 v90, v9, v50
	v_mul_f32_e32 v50, v33, v50
	v_mul_u32_u24_e32 v7, 0x48, v7
	v_lshlrev_b32_e32 v47, 2, v43
	v_mul_f32_e32 v91, v18, v75
	v_dual_mul_f32 v75, v34, v75 :: v_dual_fmac_f32 v90, v33, v49
	s_delay_alu instid0(VALU_DEP_4)
	v_add3_u32 v43, 0, v7, v46
	v_mul_f32_e32 v7, v26, v71
	v_mul_u32_u24_e32 v44, 0x48, v40
	v_dual_mul_f32 v46, v5, v63 :: v_dual_mul_f32 v63, v39, v65
	v_lshlrev_b32_e32 v40, 2, v45
	v_mul_f32_e32 v45, v8, v77
	s_delay_alu instid0(VALU_DEP_4) | instskip(SKIP_4) | instid1(VALU_DEP_4)
	v_add3_u32 v42, 0, v44, v47
	v_mul_f32_e32 v47, v27, v65
	v_dual_mul_f32 v65, v25, v67 :: v_dual_mul_f32 v44, v24, v73
	v_mul_f32_e32 v67, v37, v67
	v_dual_mul_f32 v73, v36, v73 :: v_dual_fmac_f32 v46, v11, v62
	v_fmac_f32_e32 v47, v39, v64
	v_fma_f32 v39, v27, v64, -v63
	v_dual_mul_f32 v64, v31, v87 :: v_dual_mul_f32 v77, v32, v77
	v_mul_f32_e32 v87, v61, v87
	v_mul_f32_e32 v62, v6, v79
	v_dual_mul_f32 v79, v14, v79 :: v_dual_fmac_f32 v44, v36, v72
	v_fmac_f32_e32 v65, v37, v66
	v_mul_f32_e32 v33, v3, v89
	v_mul_f32_e32 v71, v38, v71
	v_fma_f32 v37, v25, v66, -v67
	v_dual_fmac_f32 v51, v35, v68 :: v_dual_fmac_f32 v62, v14, v78
	v_fma_f32 v25, v19, v68, -v69
	v_mul_f32_e32 v66, v16, v83
	v_fma_f32 v27, v9, v49, -v50
	v_fmac_f32_e32 v7, v38, v70
	v_mul_f32_e32 v38, v2, v89
	v_fmac_f32_e32 v64, v61, v86
	v_fma_f32 v19, v8, v76, -v77
	v_fma_f32 v8, v31, v86, -v87
	v_add_f32_e32 v31, v30, v44
	v_fmac_f32_e32 v33, v2, v88
	v_dual_add_f32 v2, v10, v47 :: v_dual_mul_f32 v35, v0, v81
	v_mul_f32_e32 v63, v12, v83
	v_fma_f32 v14, v6, v78, -v79
	v_add_f32_e32 v6, v46, v65
	v_fma_f32 v36, v12, v82, -v66
	v_add_f32_e32 v12, v65, v90
	v_fma_f32 v35, v1, v80, -v35
	v_fmac_f32_e32 v63, v16, v82
	v_fmac_f32_e32 v45, v32, v76
	v_fma_f32 v24, v24, v72, -v73
	v_sub_f32_e32 v16, v37, v27
	v_fma_f32 v18, v18, v74, -v75
	v_dual_sub_f32 v72, v63, v33 :: v_dual_fmac_f32 v91, v34, v74
	v_add_f32_e32 v32, v44, v45
	v_mul_f32_e32 v5, v1, v81
	v_mul_f32_e32 v9, v13, v85
	s_delay_alu instid0(VALU_DEP_4) | instskip(SKIP_3) | instid1(VALU_DEP_4)
	v_dual_mul_f32 v49, v17, v85 :: v_dual_sub_f32 v66, v91, v64
	v_fma_f32 v1, v3, v88, -v38
	v_dual_add_f32 v3, v47, v51 :: v_dual_fmac_f32 v46, -0.5, v12
	v_dual_add_f32 v34, v7, v91 :: v_dual_fmac_f32 v5, v0, v80
	v_fma_f32 v0, v13, v84, -v49
	s_delay_alu instid0(VALU_DEP_3)
	v_dual_fmac_f32 v10, -0.5, v3 :: v_dual_sub_f32 v13, v39, v25
	v_fmac_f32_e32 v30, -0.5, v32
	v_add_f32_e32 v50, v91, v64
	v_fmac_f32_e32 v9, v17, v84
	v_dual_add_f32 v17, v37, v27 :: v_dual_add_f32 v64, v34, v64
	v_fma_f32 v11, v26, v70, -v71
	v_dual_sub_f32 v38, v65, v90 :: v_dual_sub_f32 v49, v24, v19
	v_sub_f32_e32 v68, v35, v0
	s_delay_alu instid0(VALU_DEP_4) | instskip(SKIP_2) | instid1(VALU_DEP_3)
	v_fma_f32 v26, -0.5, v17, v52
	v_dual_fmac_f32 v7, -0.5, v50 :: v_dual_fmamk_f32 v50, v13, 0xbf5db3d7, v10
	v_add_f32_e32 v74, v31, v45
	v_dual_add_f32 v69, v63, v33 :: v_dual_fmamk_f32 v32, v38, 0x3f5db3d7, v26
	v_dual_fmac_f32 v10, 0x3f5db3d7, v13 :: v_dual_add_f32 v65, v18, v8
	v_sub_f32_e32 v70, v36, v1
	v_add_f32_e32 v67, v5, v9
	v_add_f32_e32 v73, v2, v51
	v_fma_f32 v2, -0.5, v69, v62
	v_fmamk_f32 v69, v49, 0xbf5db3d7, v30
	v_fmac_f32_e32 v30, 0x3f5db3d7, v49
	v_fma_f32 v12, -0.5, v65, v11
	v_dual_sub_f32 v61, v18, v8 :: v_dual_fmac_f32 v26, 0xbf5db3d7, v38
	v_fmamk_f32 v31, v16, 0xbf5db3d7, v46
	v_fmac_f32_e32 v46, 0x3f5db3d7, v16
	v_fma_f32 v34, -0.5, v67, v60
	v_add_f32_e32 v3, v6, v90
	v_fmamk_f32 v17, v66, 0x3f5db3d7, v12
	v_fmac_f32_e32 v12, 0xbf5db3d7, v66
	v_dual_add_f32 v66, v74, v64 :: v_dual_add_f32 v71, v36, v1
	v_fmamk_f32 v16, v61, 0xbf5db3d7, v7
	v_dual_fmamk_f32 v38, v68, 0xbf5db3d7, v34 :: v_dual_add_f32 v65, v73, v3
	v_fmac_f32_e32 v34, 0x3f5db3d7, v68
	s_delay_alu instid0(VALU_DEP_4)
	v_fma_f32 v6, -0.5, v71, v14
	v_mul_f32_e32 v68, 0xbf5db3d7, v26
	v_fmac_f32_e32 v7, 0x3f5db3d7, v61
	v_sub_f32_e32 v67, v73, v3
	v_fmamk_f32 v3, v70, 0xbf5db3d7, v2
	v_fmac_f32_e32 v2, 0x3f5db3d7, v70
	v_fmac_f32_e32 v68, -0.5, v46
	v_fmamk_f32 v13, v72, 0x3f5db3d7, v6
	v_fmac_f32_e32 v6, 0xbf5db3d7, v72
	v_sub_f32_e32 v71, v74, v64
	v_mul_f32_e32 v72, 0xbf5db3d7, v12
	v_mul_f32_e32 v49, 0xbf5db3d7, v32
	v_dual_add_f32 v74, v10, v68 :: v_dual_mul_f32 v61, 0xbf5db3d7, v13
	v_mul_f32_e32 v64, 0xbf5db3d7, v6
	s_delay_alu instid0(VALU_DEP_4) | instskip(NEXT) | instid1(VALU_DEP_4)
	v_fmac_f32_e32 v72, -0.5, v7
	v_dual_mul_f32 v70, 0xbf5db3d7, v17 :: v_dual_fmac_f32 v49, 0.5, v31
	s_delay_alu instid0(VALU_DEP_3) | instskip(NEXT) | instid1(VALU_DEP_3)
	v_dual_fmac_f32 v61, 0.5, v3 :: v_dual_fmac_f32 v64, -0.5, v2
	v_add_f32_e32 v76, v30, v72
	s_delay_alu instid0(VALU_DEP_3) | instskip(SKIP_1) | instid1(VALU_DEP_4)
	v_dual_fmac_f32 v70, 0.5, v16 :: v_dual_add_f32 v73, v50, v49
	v_sub_f32_e32 v75, v50, v49
	v_sub_f32_e32 v49, v38, v61
	;; [unrolled: 1-line block ×4, first 2 shown]
	v_add_f32_e32 v68, v69, v70
	v_dual_sub_f32 v69, v69, v70 :: v_dual_sub_f32 v30, v30, v72
	ds_store_2addr_b32 v43, v65, v73 offset1:3
	ds_store_2addr_b32 v43, v74, v67 offset0:6 offset1:9
	ds_store_2addr_b32 v43, v75, v10 offset0:12 offset1:15
	ds_store_2addr_b32 v42, v66, v68 offset1:3
	ds_store_2addr_b32 v42, v76, v71 offset0:6 offset1:9
	ds_store_2addr_b32 v42, v69, v30 offset0:12 offset1:15
	s_and_saveexec_b32 s6, s1
	s_cbranch_execz .LBB0_25
; %bb.24:
	v_add_f32_e32 v10, v60, v5
	v_add_f32_e32 v30, v62, v63
	v_mul_u32_u24_e32 v60, 0x48, v41
	s_delay_alu instid0(VALU_DEP_2) | instskip(SKIP_4) | instid1(VALU_DEP_3)
	v_add_f32_e32 v30, v30, v33
	v_add_f32_e32 v33, v34, v64
	;; [unrolled: 1-line block ×4, first 2 shown]
	v_add3_u32 v38, 0, v60, v40
	v_add_f32_e32 v60, v10, v30
	v_sub_f32_e32 v10, v10, v30
	ds_store_2addr_b32 v38, v60, v34 offset1:3
	ds_store_2addr_b32 v38, v33, v10 offset0:6 offset1:9
	ds_store_2addr_b32 v38, v49, v50 offset0:12 offset1:15
.LBB0_25:
	s_wait_alu 0xfffe
	s_or_b32 exec_lo, exec_lo, s6
	v_dual_sub_f32 v33, v47, v51 :: v_dual_add_f32 v34, v52, v37
	v_add_f32_e32 v10, v39, v25
	v_mul_f32_e32 v32, 0.5, v32
	global_wb scope:SCOPE_SE
	s_wait_dscnt 0x0
	s_barrier_signal -1
	s_barrier_wait -1
	global_inv scope:SCOPE_SE
	v_fmac_f32_e32 v32, 0x3f5db3d7, v31
	v_add_f32_e32 v30, v4, v39
	v_fmac_f32_e32 v4, -0.5, v10
	v_mul_f32_e32 v10, -0.5, v26
	v_dual_add_f32 v26, v34, v27 :: v_dual_mul_f32 v51, 0.5, v17
	v_lshl_add_u32 v17, v56, 2, 0
	s_delay_alu instid0(VALU_DEP_4) | instskip(NEXT) | instid1(VALU_DEP_4)
	v_fmamk_f32 v27, v33, 0x3f5db3d7, v4
	v_fmac_f32_e32 v10, 0x3f5db3d7, v46
	v_add_f32_e32 v11, v11, v18
	v_sub_f32_e32 v69, v5, v9
	v_lshl_add_u32 v18, v58, 2, 0
	v_add_f32_e32 v47, v27, v32
	v_dual_add_f32 v25, v30, v25 :: v_dual_add_f32 v30, v24, v19
	v_add_f32_e32 v24, v29, v24
	v_fmac_f32_e32 v51, 0x3f5db3d7, v16
	v_dual_add_f32 v64, v11, v8 :: v_dual_mul_f32 v39, -0.5, v6
	s_delay_alu instid0(VALU_DEP_4)
	v_fmac_f32_e32 v29, -0.5, v30
	v_add_f32_e32 v46, v25, v26
	v_sub_f32_e32 v61, v25, v26
	v_sub_f32_e32 v25, v44, v45
	v_fmac_f32_e32 v4, 0xbf5db3d7, v33
	v_sub_f32_e32 v62, v27, v32
	v_dual_mul_f32 v38, 0.5, v13 :: v_dual_fmac_f32 v39, 0x3f5db3d7, v2
	s_delay_alu instid0(VALU_DEP_3) | instskip(SKIP_2) | instid1(VALU_DEP_3)
	v_dual_fmamk_f32 v63, v25, 0x3f5db3d7, v29 :: v_dual_add_f32 v60, v4, v10
	v_dual_mul_f32 v52, -0.5, v12 :: v_dual_sub_f32 v65, v4, v10
	v_add_f32_e32 v45, v24, v19
	v_add_f32_e32 v67, v63, v51
	v_fmac_f32_e32 v29, 0xbf5db3d7, v25
	s_delay_alu instid0(VALU_DEP_4) | instskip(NEXT) | instid1(VALU_DEP_4)
	v_dual_fmac_f32 v52, 0x3f5db3d7, v7 :: v_dual_add_f32 v7, v35, v0
	v_dual_add_f32 v66, v45, v64 :: v_dual_add_nc_u32 v25, 0x400, v59
	v_fmac_f32_e32 v38, 0x3f5db3d7, v3
	v_lshl_add_u32 v16, v54, 2, 0
	s_delay_alu instid0(VALU_DEP_4) | instskip(SKIP_3) | instid1(VALU_DEP_4)
	v_fma_f32 v37, -0.5, v7, v15
	v_lshl_add_u32 v19, v57, 2, 0
	v_add_nc_u32_e32 v30, 0x800, v59
	v_dual_sub_f32 v3, v63, v51 :: v_dual_add_f32 v68, v29, v52
	v_fmamk_f32 v44, v69, 0x3f5db3d7, v37
	v_add_nc_u32_e32 v34, 0xa00, v59
	ds_load_b32 v24, v59
	ds_load_b32 v32, v17
	;; [unrolled: 1-line block ×5, first 2 shown]
	ds_load_b32 v27, v16 offset:1080
	v_sub_f32_e32 v29, v29, v52
	v_sub_f32_e32 v51, v44, v38
	ds_load_2addr_b32 v[12:13], v25 offset0:68 offset1:122
	ds_load_2addr_b32 v[4:5], v25 offset0:176 offset1:230
	;; [unrolled: 1-line block ×5, first 2 shown]
	v_dual_fmac_f32 v37, 0xbf5db3d7, v69 :: v_dual_sub_f32 v2, v45, v64
	global_wb scope:SCOPE_SE
	s_wait_dscnt 0x0
	s_barrier_signal -1
	s_barrier_wait -1
	v_sub_f32_e32 v52, v37, v39
	global_inv scope:SCOPE_SE
	ds_store_2addr_b32 v43, v46, v47 offset1:3
	ds_store_2addr_b32 v43, v60, v61 offset0:6 offset1:9
	ds_store_2addr_b32 v43, v62, v65 offset0:12 offset1:15
	ds_store_2addr_b32 v42, v66, v67 offset1:3
	ds_store_2addr_b32 v42, v68, v2 offset0:6 offset1:9
	ds_store_2addr_b32 v42, v3, v29 offset0:12 offset1:15
	s_and_saveexec_b32 s6, s1
	s_cbranch_execz .LBB0_27
; %bb.26:
	v_dual_add_f32 v2, v15, v35 :: v_dual_add_f32 v3, v14, v36
	v_mul_u32_u24_e32 v14, 0x48, v41
	s_delay_alu instid0(VALU_DEP_2) | instskip(SKIP_1) | instid1(VALU_DEP_3)
	v_dual_add_f32 v0, v2, v0 :: v_dual_add_f32 v1, v3, v1
	v_dual_add_f32 v2, v44, v38 :: v_dual_add_f32 v3, v37, v39
	v_add3_u32 v14, 0, v14, v40
	s_delay_alu instid0(VALU_DEP_3)
	v_add_f32_e32 v15, v0, v1
	v_sub_f32_e32 v0, v0, v1
	ds_store_2addr_b32 v14, v15, v2 offset1:3
	ds_store_2addr_b32 v14, v3, v0 offset0:6 offset1:9
	ds_store_2addr_b32 v14, v51, v52 offset0:12 offset1:15
.LBB0_27:
	s_wait_alu 0xfffe
	s_or_b32 exec_lo, exec_lo, s6
	v_mul_lo_u16 v0, v28, 57
	global_wb scope:SCOPE_SE
	s_wait_dscnt 0x0
	s_barrier_signal -1
	s_barrier_wait -1
	global_inv scope:SCOPE_SE
	v_lshrrev_b16 v14, 10, v0
	s_delay_alu instid0(VALU_DEP_1) | instskip(NEXT) | instid1(VALU_DEP_1)
	v_mul_lo_u16 v0, v14, 18
	v_sub_nc_u16 v0, v54, v0
	s_delay_alu instid0(VALU_DEP_1) | instskip(NEXT) | instid1(VALU_DEP_1)
	v_and_b32_e32 v35, 0xff, v0
	v_mul_u32_u24_e32 v0, 15, v35
	s_delay_alu instid0(VALU_DEP_1)
	v_lshlrev_b32_e32 v15, 3, v0
	s_clause 0x7
	global_load_b128 v[39:42], v15, s[4:5] offset:120
	global_load_b128 v[43:46], v15, s[4:5] offset:136
	;; [unrolled: 1-line block ×7, first 2 shown]
	global_load_b64 v[28:29], v15, s[4:5] offset:232
	v_and_b32_e32 v14, 0xffff, v14
	ds_load_b32 v47, v53
	ds_load_b32 v38, v59
	;; [unrolled: 1-line block ×3, first 2 shown]
	v_mul_u32_u24_e32 v36, 0x120, v14
	ds_load_b32 v85, v19
	ds_load_b32 v86, v18
	ds_load_b32 v87, v16 offset:1080
	ds_load_2addr_b32 v[76:77], v25 offset0:68 offset1:122
	ds_load_2addr_b32 v[14:15], v25 offset0:176 offset1:230
	;; [unrolled: 1-line block ×5, first 2 shown]
	global_wb scope:SCOPE_SE
	s_wait_loadcnt_dscnt 0x0
	s_barrier_signal -1
	s_barrier_wait -1
	global_inv scope:SCOPE_SE
	v_mul_f32_e32 v88, v47, v40
	v_dual_mul_f32 v40, v33, v40 :: v_dual_mul_f32 v91, v86, v46
	v_dual_mul_f32 v89, v84, v42 :: v_dual_mul_f32 v90, v85, v44
	v_mul_f32_e32 v42, v32, v42
	v_or_b32_e32 v36, v36, v35
	v_dual_mul_f32 v44, v31, v44 :: v_dual_add_nc_u32 v35, 0x600, v59
	v_mul_f32_e32 v93, v76, v63
	v_dual_mul_f32 v95, v13, v1 :: v_dual_mul_f32 v96, v14, v3
	s_delay_alu instid0(VALU_DEP_4)
	v_lshl_add_u32 v36, v36, 2, 0
	v_dual_mul_f32 v97, v15, v65 :: v_dual_fmac_f32 v88, v33, v39
	v_mul_f32_e32 v65, v5, v65
	v_fma_f32 v39, v47, v39, -v40
	v_dual_mul_f32 v40, v10, v67 :: v_dual_fmac_f32 v89, v32, v41
	v_fmac_f32_e32 v90, v31, v43
	v_fma_f32 v41, v84, v41, -v42
	v_dual_mul_f32 v42, v11, v69 :: v_dual_mul_f32 v47, v80, v71
	v_dual_mul_f32 v92, v87, v61 :: v_dual_add_nc_u32 v37, 0x200, v36
	v_dual_mul_f32 v63, v12, v63 :: v_dual_mul_f32 v94, v77, v1
	v_dual_mul_f32 v33, v78, v67 :: v_dual_mul_f32 v32, v79, v69
	v_mul_f32_e32 v69, v81, v73
	s_delay_alu instid0(VALU_DEP_3)
	v_dual_mul_f32 v31, v82, v75 :: v_dual_fmac_f32 v94, v13, v0
	v_fma_f32 v43, v85, v43, -v44
	v_mul_f32_e32 v44, v6, v75
	v_dual_fmac_f32 v91, v26, v45 :: v_dual_fmac_f32 v96, v4, v2
	v_fmac_f32_e32 v47, v8, v70
	v_fmac_f32_e32 v97, v5, v64
	v_fma_f32 v5, v15, v64, -v65
	v_dual_mul_f32 v46, v26, v46 :: v_dual_mul_f32 v67, v8, v71
	v_mul_f32_e32 v26, v83, v29
	v_dual_mul_f32 v71, v9, v73 :: v_dual_fmac_f32 v92, v27, v60
	v_mul_f32_e32 v29, v7, v29
	v_dual_fmac_f32 v93, v12, v62 :: v_dual_fmac_f32 v32, v11, v68
	v_fma_f32 v12, v76, v62, -v63
	v_dual_fmac_f32 v33, v10, v66 :: v_dual_fmac_f32 v26, v7, v28
	v_fma_f32 v10, v78, v66, -v40
	v_dual_sub_f32 v40, v39, v5 :: v_dual_fmac_f32 v31, v6, v74
	v_fma_f32 v6, v82, v74, -v44
	v_fmac_f32_e32 v69, v9, v72
	v_fma_f32 v7, v83, v28, -v29
	v_sub_f32_e32 v28, v24, v96
	v_sub_f32_e32 v8, v91, v47
	v_dual_sub_f32 v6, v12, v6 :: v_dual_sub_f32 v29, v89, v33
	v_sub_f32_e32 v26, v94, v26
	v_dual_sub_f32 v10, v41, v10 :: v_dual_sub_f32 v33, v88, v97
	v_sub_f32_e32 v5, v92, v69
	v_mul_f32_e32 v61, v27, v61
	v_fma_f32 v13, v79, v68, -v42
	v_fma_f32 v24, v24, 2.0, -v28
	v_fma_f32 v42, v91, 2.0, -v8
	v_dual_sub_f32 v62, v40, v5 :: v_dual_sub_f32 v31, v93, v31
	v_fma_f32 v1, v86, v45, -v46
	v_fma_f32 v27, v87, v60, -v61
	s_delay_alu instid0(VALU_DEP_4)
	v_sub_f32_e32 v42, v24, v42
	v_fma_f32 v0, v77, v0, -v95
	v_fma_f32 v9, v81, v72, -v71
	v_fma_f32 v45, v88, 2.0, -v33
	v_sub_f32_e32 v68, v10, v31
	v_fma_f32 v46, v92, 2.0, -v5
	v_sub_f32_e32 v13, v43, v13
	v_fma_f32 v11, v80, v70, -v67
	v_fma_f32 v15, v41, 2.0, -v10
	v_fma_f32 v67, v10, 2.0, -v68
	v_dual_sub_f32 v10, v45, v46 :: v_dual_sub_f32 v9, v27, v9
	v_fma_f32 v43, v43, 2.0, -v13
	v_sub_f32_e32 v7, v0, v7
	v_dual_sub_f32 v11, v1, v11 :: v_dual_sub_f32 v32, v90, v32
	v_fma_f32 v44, v89, 2.0, -v29
	v_fma_f32 v41, v93, 2.0, -v31
	;; [unrolled: 1-line block ×6, first 2 shown]
	v_sub_f32_e32 v26, v13, v26
	v_fma_f32 v27, v27, 2.0, -v9
	v_add_f32_e32 v65, v29, v6
	v_fma_f32 v47, v90, 2.0, -v32
	v_add_f32_e32 v31, v33, v9
	v_sub_f32_e32 v5, v44, v41
	v_sub_f32_e32 v41, v15, v12
	;; [unrolled: 1-line block ×3, first 2 shown]
	v_fma_f32 v66, v29, 2.0, -v65
	v_fma_f32 v29, v40, 2.0, -v62
	v_dual_sub_f32 v40, v43, v0 :: v_dual_add_f32 v63, v32, v7
	v_add_f32_e32 v61, v28, v11
	v_fma_f32 v27, v33, 2.0, -v31
	v_fma_f32 v46, v13, 2.0, -v26
	s_delay_alu instid0(VALU_DEP_4) | instskip(SKIP_4) | instid1(VALU_DEP_4)
	v_add_f32_e32 v70, v10, v40
	v_fmamk_f32 v0, v63, 0x3f3504f3, v31
	v_fma_f32 v28, v28, 2.0, -v61
	v_dual_sub_f32 v33, v47, v60 :: v_dual_fmamk_f32 v60, v65, 0x3f3504f3, v61
	v_fma_f32 v32, v32, 2.0, -v63
	v_fmac_f32_e32 v0, 0x3f3504f3, v26
	v_fma_f32 v13, v44, 2.0, -v5
	v_fma_f32 v44, v39, 2.0, -v12
	;; [unrolled: 1-line block ×3, first 2 shown]
	v_dual_fmamk_f32 v43, v66, 0xbf3504f3, v28 :: v_dual_fmamk_f32 v6, v32, 0xbf3504f3, v27
	v_fma_f32 v64, v24, 2.0, -v42
	v_fma_f32 v24, v47, 2.0, -v33
	v_add_f32_e32 v47, v42, v41
	s_delay_alu instid0(VALU_DEP_4) | instskip(NEXT) | instid1(VALU_DEP_4)
	v_dual_fmac_f32 v43, 0x3f3504f3, v67 :: v_dual_fmac_f32 v6, 0x3f3504f3, v46
	v_dual_fmamk_f32 v7, v26, 0x3f3504f3, v62 :: v_dual_sub_f32 v26, v64, v13
	v_fma_f32 v69, v45, 2.0, -v10
	v_fmamk_f32 v9, v46, 0xbf3504f3, v29
	v_fma_f32 v46, v10, 2.0, -v70
	v_fma_f32 v28, v28, 2.0, -v43
	;; [unrolled: 1-line block ×3, first 2 shown]
	v_dual_fmac_f32 v60, 0x3f3504f3, v68 :: v_dual_sub_f32 v45, v44, v39
	v_fmac_f32_e32 v9, 0xbf3504f3, v32
	v_fma_f32 v32, v64, 2.0, -v26
	s_delay_alu instid0(VALU_DEP_4) | instskip(SKIP_4) | instid1(VALU_DEP_4)
	v_fmamk_f32 v64, v10, 0xbf6c835e, v28
	v_fmac_f32_e32 v7, 0xbf3504f3, v63
	v_dual_sub_f32 v13, v69, v24 :: v_dual_fmamk_f32 v24, v0, 0x3f6c835e, v60
	v_fma_f32 v40, v29, 2.0, -v9
	v_fmamk_f32 v63, v6, 0x3ec3ef15, v43
	v_fma_f32 v39, v62, 2.0, -v7
	v_add_f32_e32 v62, v26, v45
	v_dual_sub_f32 v71, v12, v33 :: v_dual_fmac_f32 v24, 0x3ec3ef15, v7
	v_fma_f32 v33, v42, 2.0, -v47
	v_fma_f32 v42, v61, 2.0, -v60
	;; [unrolled: 1-line block ×3, first 2 shown]
	s_delay_alu instid0(VALU_DEP_4) | instskip(SKIP_4) | instid1(VALU_DEP_4)
	v_fma_f32 v72, v12, 2.0, -v71
	v_fma_f32 v12, v31, 2.0, -v0
	v_dual_fmamk_f32 v31, v70, 0x3f3504f3, v47 :: v_dual_mul_f32 v68, 0x3f3504f3, v68
	v_fmamk_f32 v27, v46, 0xbf3504f3, v33
	v_sub_f32_e32 v61, v32, v61
	v_fmamk_f32 v29, v12, 0xbec3ef15, v42
	s_delay_alu instid0(VALU_DEP_4)
	v_fmac_f32_e32 v31, 0x3f3504f3, v71
	v_fmac_f32_e32 v64, 0x3ec3ef15, v40
	;; [unrolled: 1-line block ×5, first 2 shown]
	v_fma_f32 v47, v47, 2.0, -v31
	v_fma_f32 v60, v60, 2.0, -v24
	ds_store_2addr_b32 v37, v31, v24 offset0:124 offset1:142
	v_fma_f32 v31, v32, 2.0, -v61
	v_fma_f32 v32, v33, 2.0, -v27
	;; [unrolled: 1-line block ×5, first 2 shown]
	ds_store_2addr_b32 v36, v47, v60 offset0:108 offset1:126
	ds_store_2addr_b32 v36, v27, v29 offset0:180 offset1:198
	v_fma_f32 v27, v28, 2.0, -v64
	ds_store_2addr_b32 v36, v62, v63 offset0:216 offset1:234
	ds_store_2addr_b32 v36, v32, v33 offset0:36 offset1:54
	;; [unrolled: 1-line block ×4, first 2 shown]
	ds_store_2addr_b32 v36, v31, v27 offset1:18
	global_wb scope:SCOPE_SE
	s_wait_dscnt 0x0
	s_barrier_signal -1
	s_barrier_wait -1
	global_inv scope:SCOPE_SE
	ds_load_2addr_b32 v[26:27], v25 offset0:32 offset1:86
	ds_load_2addr_b32 v[28:29], v35 offset0:120 offset1:192
	;; [unrolled: 1-line block ×4, first 2 shown]
	ds_load_b32 v60, v59
	ds_load_b32 v62, v17
	ds_load_b32 v63, v19
	ds_load_2addr_b32 v[42:43], v34 offset0:98 offset1:152
	ds_load_b32 v61, v53
	ds_load_b32 v64, v18
	v_mul_f32_e32 v34, 0x3f3504f3, v46
	v_mul_f32_e32 v25, 0x3f3504f3, v66
	v_dual_mul_f32 v67, 0x3f3504f3, v67 :: v_dual_mul_f32 v66, 0x3f3504f3, v65
	v_dual_mul_f32 v47, 0x3f3504f3, v72 :: v_dual_mul_f32 v46, 0x3f3504f3, v70
	v_mul_f32_e32 v65, 0x3f3504f3, v71
	s_and_saveexec_b32 s1, vcc_lo
	s_cbranch_execz .LBB0_29
; %bb.28:
	ds_load_b32 v49, v59 offset:2232
	ds_load_b32 v24, v16 offset:1080
	;; [unrolled: 1-line block ×3, first 2 shown]
.LBB0_29:
	s_wait_alu 0xfffe
	s_or_b32 exec_lo, exec_lo, s1
	v_mul_f32_e32 v3, v4, v3
	v_fma_f32 v1, v1, 2.0, -v11
	v_fma_f32 v11, v44, 2.0, -v45
	global_wb scope:SCOPE_SE
	s_wait_dscnt 0x0
	s_barrier_signal -1
	v_fma_f32 v2, v14, v2, -v3
	s_barrier_wait -1
	global_inv scope:SCOPE_SE
	v_sub_f32_e32 v2, v38, v2
	s_delay_alu instid0(VALU_DEP_1) | instskip(SKIP_2) | instid1(VALU_DEP_3)
	v_fma_f32 v3, v38, 2.0, -v2
	v_sub_f32_e32 v4, v2, v8
	v_fma_f32 v8, v15, 2.0, -v41
	v_sub_f32_e32 v1, v3, v1
	s_delay_alu instid0(VALU_DEP_3) | instskip(SKIP_1) | instid1(VALU_DEP_3)
	v_fma_f32 v2, v2, 2.0, -v4
	v_add_f32_e32 v14, v4, v68
	v_fma_f32 v3, v3, 2.0, -v1
	s_delay_alu instid0(VALU_DEP_3) | instskip(NEXT) | instid1(VALU_DEP_3)
	v_sub_f32_e32 v15, v2, v67
	v_dual_sub_f32 v5, v1, v5 :: v_dual_sub_f32 v14, v14, v66
	s_delay_alu instid0(VALU_DEP_1) | instskip(NEXT) | instid1(VALU_DEP_4)
	v_fma_f32 v1, v1, 2.0, -v5
	v_sub_f32_e32 v8, v3, v8
	v_add_f32_e32 v38, v5, v65
	v_sub_f32_e32 v15, v15, v25
	v_fma_f32 v4, v4, 2.0, -v14
	v_fmamk_f32 v25, v7, 0x3f6c835e, v14
	s_delay_alu instid0(VALU_DEP_4)
	v_dual_sub_f32 v7, v1, v47 :: v_dual_sub_f32 v38, v38, v46
	v_fma_f32 v3, v3, 2.0, -v8
	v_fma_f32 v2, v2, 2.0, -v15
	v_fmamk_f32 v39, v39, 0xbec3ef15, v4
	v_fmamk_f32 v9, v9, 0x3ec3ef15, v15
	v_sub_f32_e32 v13, v8, v13
	v_dual_fmac_f32 v25, 0xbec3ef15, v0 :: v_dual_sub_f32 v0, v3, v11
	v_fmamk_f32 v11, v40, 0xbf6c835e, v2
	v_sub_f32_e32 v7, v7, v34
	v_fmac_f32_e32 v39, 0xbf6c835e, v12
	v_fmac_f32_e32 v9, 0xbf6c835e, v6
	v_fma_f32 v5, v5, 2.0, -v38
	v_fmac_f32_e32 v11, 0xbec3ef15, v10
	v_fma_f32 v6, v14, 2.0, -v25
	v_fma_f32 v1, v1, 2.0, -v7
	;; [unrolled: 1-line block ×7, first 2 shown]
	ds_store_2addr_b32 v37, v38, v25 offset0:124 offset1:142
	ds_store_2addr_b32 v36, v5, v6 offset0:108 offset1:126
	ds_store_2addr_b32 v36, v7, v39 offset0:180 offset1:198
	ds_store_2addr_b32 v36, v13, v9 offset0:216 offset1:234
	ds_store_2addr_b32 v36, v1, v4 offset0:36 offset1:54
	ds_store_2addr_b32 v36, v8, v10 offset0:72 offset1:90
	ds_store_2addr_b32 v36, v0, v11 offset0:144 offset1:162
	ds_store_2addr_b32 v36, v3, v2 offset1:18
	v_add_nc_u32_e32 v0, 0x400, v59
	v_add_nc_u32_e32 v1, 0x800, v59
	global_wb scope:SCOPE_SE
	s_wait_dscnt 0x0
	s_barrier_signal -1
	s_barrier_wait -1
	global_inv scope:SCOPE_SE
	ds_load_2addr_b32 v[36:37], v0 offset0:32 offset1:86
	ds_load_2addr_b32 v[38:39], v35 offset0:120 offset1:192
	;; [unrolled: 1-line block ×3, first 2 shown]
	v_add_nc_u32_e32 v1, 0xa00, v59
	ds_load_2addr_b32 v[44:45], v0 offset0:140 offset1:194
	ds_load_b32 v65, v59
	ds_load_b32 v66, v17
	;; [unrolled: 1-line block ×3, first 2 shown]
	ds_load_2addr_b32 v[46:47], v1 offset0:98 offset1:152
	ds_load_b32 v53, v53
	ds_load_b32 v68, v18
	s_and_saveexec_b32 s1, vcc_lo
	s_cbranch_execz .LBB0_31
; %bb.30:
	ds_load_b32 v51, v59 offset:2232
	ds_load_b32 v25, v16 offset:1080
	;; [unrolled: 1-line block ×3, first 2 shown]
.LBB0_31:
	s_wait_alu 0xfffe
	s_or_b32 exec_lo, exec_lo, s1
	s_and_saveexec_b32 s1, s0
	s_cbranch_execz .LBB0_34
; %bb.32:
	v_dual_mov_b32 v35, 0 :: v_dual_lshlrev_b32 v34, 1, v58
	v_add_nc_u32_e32 v59, 0x6c, v54
	v_add_nc_u32_e32 v69, 0xa2, v54
	v_mul_lo_u32 v23, s2, v23
	v_add_nc_u32_e32 v58, 54, v54
	v_lshlrev_b64_e32 v[0:1], 3, v[34:35]
	v_lshlrev_b32_e32 v34, 1, v57
	v_mul_hi_u32 v72, 0x38e38e39, v59
	v_mul_hi_u32 v73, 0x38e38e39, v69
	;; [unrolled: 1-line block ×4, first 2 shown]
	v_add_co_u32 v0, s0, s4, v0
	v_lshlrev_b64_e32 v[2:3], 3, v[34:35]
	s_wait_alu 0xf1ff
	v_add_co_ci_u32_e64 v1, s0, s5, v1, s0
	v_lshlrev_b32_e32 v34, 1, v56
	v_lshrrev_b32_e32 v72, 6, v72
	v_lshrrev_b32_e32 v73, 6, v73
	global_load_b128 v[12:15], v[0:1], off offset:2280
	v_add_co_u32 v0, s0, s4, v2
	s_wait_alu 0xf1ff
	v_add_co_ci_u32_e64 v1, s0, s5, v3, s0
	v_mul_u32_u24_e32 v74, 0x120, v72
	v_mul_u32_u24_e32 v75, 0x120, v73
	v_lshrrev_b32_e32 v57, 6, v57
	global_load_b128 v[16:19], v[0:1], off offset:2280
	v_lshlrev_b64_e32 v[0:1], 3, v[34:35]
	v_lshlrev_b32_e32 v34, 1, v55
	v_sub_nc_u32_e32 v59, v59, v74
	v_sub_nc_u32_e32 v74, v69, v75
	v_mad_co_u64_u32 v[55:56], null, s2, v22, 0
	v_add_co_u32 v0, s0, s4, v0
	s_wait_alu 0xf1ff
	v_add_co_ci_u32_e64 v1, s0, s5, v1, s0
	v_mad_u32_u24 v100, 0x360, v73, v74
	v_lshrrev_b32_e32 v71, 6, v71
	v_lshlrev_b64_e32 v[20:21], 3, v[20:21]
	global_load_b128 v[8:11], v[0:1], off offset:2280
	v_lshlrev_b64_e32 v[0:1], 3, v[34:35]
	v_lshlrev_b32_e32 v34, 1, v54
	v_add_nc_u32_e32 v106, 0x120, v100
	v_mad_u32_u24 v99, 0x360, v72, v59
	v_add_nc_u32_e32 v107, 0x240, v100
	v_add_co_u32 v0, s0, s4, v0
	s_wait_alu 0xf1ff
	v_add_co_ci_u32_e64 v1, s0, s5, v1, s0
	v_mad_co_u64_u32 v[88:89], null, s16, v106, 0
	v_add_nc_u32_e32 v70, 0xd8, v54
	global_load_b128 v[4:7], v[0:1], off offset:2280
	v_lshlrev_b64_e32 v[0:1], 3, v[34:35]
	v_mul_lo_u32 v34, s3, v22
	v_mad_co_u64_u32 v[73:74], null, s16, v99, 0
	v_add_nc_u32_e32 v104, 0x120, v99
	s_delay_alu instid0(VALU_DEP_4)
	v_add_co_u32 v0, s0, s4, v0
	s_wait_alu 0xf1ff
	v_add_co_ci_u32_e64 v1, s0, s5, v1, s0
	v_add3_u32 v56, v56, v23, v34
	v_mul_hi_u32 v23, 0x38e38e39, v70
	v_mul_u32_u24_e32 v34, 0x120, v57
	global_load_b128 v[0:3], v[0:1], off offset:2280
	v_mul_u32_u24_e32 v57, 0x120, v71
	v_lshlrev_b64_e32 v[55:56], 3, v[55:56]
	v_sub_nc_u32_e32 v34, v54, v34
	v_lshrrev_b32_e32 v23, 6, v23
	s_delay_alu instid0(VALU_DEP_4) | instskip(NEXT) | instid1(VALU_DEP_4)
	v_sub_nc_u32_e32 v79, v58, v57
	v_add_co_u32 v77, s1, s10, v55
	s_wait_alu 0xf1fe
	v_add_co_ci_u32_e64 v78, s1, s11, v56, s1
	v_mul_u32_u24_e32 v76, 0x120, v23
	v_mad_co_u64_u32 v[55:56], null, s16, v34, 0
	v_add_co_u32 v20, s1, v77, v20
	s_delay_alu instid0(VALU_DEP_3) | instskip(SKIP_3) | instid1(VALU_DEP_3)
	v_sub_nc_u32_e32 v75, v70, v76
	s_wait_alu 0xf1ff
	v_add_co_ci_u32_e64 v21, s1, v78, v21, s1
	v_mad_u32_u24 v98, 0x360, v71, v79
	v_mad_u32_u24 v101, 0x360, v23, v75
	v_mov_b32_e32 v23, v56
	v_mad_co_u64_u32 v[75:76], null, s16, v100, 0
	s_delay_alu instid0(VALU_DEP_4) | instskip(NEXT) | instid1(VALU_DEP_4)
	v_mad_co_u64_u32 v[71:72], null, s16, v98, 0
	v_add_nc_u32_e32 v109, 0x240, v101
	v_mad_co_u64_u32 v[77:78], null, s16, v101, 0
	v_add_nc_u32_e32 v97, 0x240, v34
	v_mad_co_u64_u32 v[79:80], null, s17, v34, v[23:24]
	s_delay_alu instid0(VALU_DEP_4) | instskip(SKIP_1) | instid1(VALU_DEP_4)
	v_mad_co_u64_u32 v[94:95], null, s16, v109, 0
	v_add_nc_u32_e32 v96, 0x120, v34
	v_mad_co_u64_u32 v[69:70], null, s16, v97, 0
	v_add_nc_u32_e32 v102, 0x120, v98
	v_dual_mov_b32 v56, v79 :: v_dual_add_nc_u32 v103, 0x240, v98
	s_delay_alu instid0(VALU_DEP_4) | instskip(NEXT) | instid1(VALU_DEP_3)
	v_mad_co_u64_u32 v[57:58], null, s16, v96, 0
	v_mad_co_u64_u32 v[80:81], null, s16, v102, 0
	v_mov_b32_e32 v34, v70
	s_delay_alu instid0(VALU_DEP_4) | instskip(NEXT) | instid1(VALU_DEP_4)
	v_mad_co_u64_u32 v[82:83], null, s16, v103, 0
	v_dual_mov_b32 v70, v78 :: v_dual_mov_b32 v23, v58
	v_add_nc_u32_e32 v105, 0x240, v99
	v_add_nc_u32_e32 v108, 0x120, v101
	v_lshlrev_b64_e32 v[55:56], 3, v[55:56]
	s_delay_alu instid0(VALU_DEP_4) | instskip(SKIP_3) | instid1(VALU_DEP_3)
	v_mad_co_u64_u32 v[58:59], null, s17, v96, v[23:24]
	v_mov_b32_e32 v23, v72
	v_mad_co_u64_u32 v[96:97], null, s17, v97, v[34:35]
	v_dual_mov_b32 v34, v74 :: v_dual_mov_b32 v59, v76
	v_mad_co_u64_u32 v[78:79], null, s17, v98, v[23:24]
	v_dual_mov_b32 v23, v81 :: v_dual_mov_b32 v72, v83
	s_delay_alu instid0(VALU_DEP_3) | instskip(NEXT) | instid1(VALU_DEP_4)
	v_mad_co_u64_u32 v[97:98], null, s17, v99, v[34:35]
	v_mad_co_u64_u32 v[98:99], null, s17, v100, v[59:60]
	;; [unrolled: 1-line block ×3, first 2 shown]
	s_delay_alu instid0(VALU_DEP_4)
	v_mad_co_u64_u32 v[100:101], null, s17, v102, v[23:24]
	v_mad_co_u64_u32 v[101:102], null, s17, v103, v[72:73]
	;; [unrolled: 1-line block ×3, first 2 shown]
	v_dual_mov_b32 v70, v96 :: v_dual_mov_b32 v23, v95
	v_mov_b32_e32 v59, v89
	v_lshlrev_b64_e32 v[57:58], 3, v[57:58]
	v_mov_b32_e32 v83, v101
	v_mad_co_u64_u32 v[84:85], null, s16, v104, 0
	v_mov_b32_e32 v74, v87
	v_add_co_u32 v55, s1, v20, v55
	s_wait_alu 0xf1ff
	v_add_co_ci_u32_e64 v56, s1, v21, v56, s1
	s_delay_alu instid0(VALU_DEP_3) | instskip(SKIP_3) | instid1(VALU_DEP_3)
	v_mad_co_u64_u32 v[102:103], null, s17, v105, v[74:75]
	v_mov_b32_e32 v34, v85
	v_mad_co_u64_u32 v[90:91], null, s16, v107, 0
	v_add_co_u32 v57, s1, v20, v57
	v_mad_co_u64_u32 v[95:96], null, s17, v104, v[34:35]
	v_mov_b32_e32 v87, v102
	v_mad_co_u64_u32 v[92:93], null, s16, v108, 0
	v_add_nc_u32_e32 v22, 0x10e, v54
	s_wait_alu 0xf1ff
	v_add_co_ci_u32_e64 v58, s1, v21, v58, s1
	v_mov_b32_e32 v85, v95
	v_mad_co_u64_u32 v[103:104], null, s17, v106, v[59:60]
	v_dual_mov_b32 v79, v93 :: v_dual_mov_b32 v76, v91
	v_mov_b32_e32 v81, v100
	v_cmp_gt_u32_e64 s0, 0x120, v22
	s_delay_alu instid0(VALU_DEP_4) | instskip(NEXT) | instid1(VALU_DEP_4)
	v_mov_b32_e32 v89, v103
	v_mad_co_u64_u32 v[104:105], null, s17, v107, v[76:77]
	v_mad_co_u64_u32 v[105:106], null, s17, v108, v[79:80]
	v_mad_co_u64_u32 v[106:107], null, s17, v109, v[23:24]
	v_mov_b32_e32 v72, v78
	v_mov_b32_e32 v76, v98
	v_dual_mov_b32 v78, v99 :: v_dual_mov_b32 v91, v104
	v_lshlrev_b64_e32 v[69:70], 3, v[69:70]
	v_dual_mov_b32 v74, v97 :: v_dual_mov_b32 v95, v106
	v_mov_b32_e32 v93, v105
	v_lshlrev_b64_e32 v[71:72], 3, v[71:72]
	v_lshlrev_b64_e32 v[79:80], 3, v[80:81]
	s_delay_alu instid0(VALU_DEP_4)
	v_lshlrev_b64_e32 v[73:74], 3, v[73:74]
	v_add_co_u32 v69, s1, v20, v69
	s_wait_alu 0xf1ff
	v_add_co_ci_u32_e64 v70, s1, v21, v70, s1
	v_add_co_u32 v71, s1, v20, v71
	s_wait_alu 0xf1ff
	v_add_co_ci_u32_e64 v72, s1, v21, v72, s1
	;; [unrolled: 3-line block ×3, first 2 shown]
	v_lshlrev_b64_e32 v[81:82], 3, v[82:83]
	v_lshlrev_b64_e32 v[83:84], 3, v[84:85]
	v_lshlrev_b64_e32 v[85:86], 3, v[86:87]
	v_lshlrev_b64_e32 v[87:88], 3, v[88:89]
	v_lshlrev_b64_e32 v[89:90], 3, v[90:91]
	v_lshlrev_b64_e32 v[91:92], 3, v[92:93]
	v_lshlrev_b64_e32 v[93:94], 3, v[94:95]
	s_wait_loadcnt 0x4
	v_mul_f32_e32 v23, v28, v13
	s_wait_dscnt 0x8
	v_dual_mul_f32 v13, v38, v13 :: v_dual_mul_f32 v34, v43, v15
	s_wait_dscnt 0x2
	v_mul_f32_e32 v15, v47, v15
	v_lshlrev_b64_e32 v[75:76], 3, v[75:76]
	v_fma_f32 v23, v38, v12, -v23
	v_fmac_f32_e32 v13, v28, v12
	v_fma_f32 v34, v47, v14, -v34
	s_wait_loadcnt 0x3
	v_dual_mul_f32 v12, v33, v17 :: v_dual_fmac_f32 v15, v43, v14
	v_dual_mul_f32 v14, v42, v19 :: v_dual_mul_f32 v17, v45, v17
	s_delay_alu instid0(VALU_DEP_3) | instskip(NEXT) | instid1(VALU_DEP_3)
	v_dual_add_f32 v28, v23, v34 :: v_dual_mul_f32 v19, v46, v19
	v_fma_f32 v45, v45, v16, -v12
	s_delay_alu instid0(VALU_DEP_3)
	v_fma_f32 v46, v46, v18, -v14
	v_dual_sub_f32 v38, v13, v15 :: v_dual_sub_f32 v47, v23, v34
	s_wait_dscnt 0x0
	v_add_f32_e32 v23, v68, v23
	v_fmac_f32_e32 v17, v33, v16
	v_fma_f32 v12, -0.5, v28, v68
	v_sub_f32_e32 v28, v45, v46
	s_delay_alu instid0(VALU_DEP_4)
	v_dual_add_f32 v43, v13, v15 :: v_dual_add_f32 v14, v23, v34
	v_add_f32_e32 v13, v64, v13
	s_wait_loadcnt 0x2
	v_dual_mul_f32 v16, v32, v9 :: v_dual_fmac_f32 v19, v42, v18
	v_mul_f32_e32 v42, v41, v11
	v_dual_mul_f32 v18, v31, v11 :: v_dual_mul_f32 v33, v44, v9
	v_fma_f32 v11, -0.5, v43, v64
	v_add_f32_e32 v13, v13, v15
	v_dual_add_f32 v9, v45, v46 :: v_dual_add_f32 v34, v67, v45
	v_sub_f32_e32 v23, v17, v19
	v_add_f32_e32 v15, v17, v19
	v_add_f32_e32 v17, v63, v17
	v_fma_f32 v43, v44, v8, -v16
	s_wait_loadcnt 0x1
	v_mul_f32_e32 v44, v40, v7
	v_fma_f32 v18, v41, v10, -v18
	v_dual_fmac_f32 v42, v31, v10 :: v_dual_fmac_f32 v33, v32, v8
	v_mul_f32_e32 v32, v30, v7
	v_lshlrev_b64_e32 v[77:78], 3, v[77:78]
	v_add_co_u32 v75, s1, v20, v75
	v_mul_f32_e32 v31, v27, v5
	v_dual_mul_f32 v41, v37, v5 :: v_dual_fmac_f32 v44, v30, v6
	v_fmamk_f32 v8, v38, 0xbf5db3d7, v12
	v_fmac_f32_e32 v12, 0x3f5db3d7, v38
	v_fma_f32 v10, -0.5, v9, v67
	v_add_f32_e32 v16, v34, v46
	v_fma_f32 v9, -0.5, v15, v63
	v_add_f32_e32 v5, v43, v18
	v_sub_f32_e32 v34, v43, v18
	v_add_f32_e32 v38, v66, v43
	v_add_f32_e32 v15, v17, v19
	v_sub_f32_e32 v19, v33, v42
	v_fma_f32 v32, v40, v6, -v32
	s_wait_loadcnt 0x0
	v_mul_f32_e32 v40, v39, v3
	s_wait_alu 0xf1ff
	v_add_co_ci_u32_e64 v76, s1, v21, v76, s1
	v_add_co_u32 v77, s1, v20, v77
	s_wait_alu 0xf1ff
	v_add_co_ci_u32_e64 v78, s1, v21, v78, s1
	v_dual_fmamk_f32 v7, v47, 0x3f5db3d7, v11 :: v_dual_mul_f32 v30, v29, v3
	v_fmac_f32_e32 v11, 0xbf5db3d7, v47
	v_add_f32_e32 v17, v33, v42
	v_fma_f32 v31, v37, v4, -v31
	v_dual_fmac_f32 v41, v27, v4 :: v_dual_fmac_f32 v40, v29, v2
	v_add_f32_e32 v33, v62, v33
	v_dual_mul_f32 v27, v26, v1 :: v_dual_fmamk_f32 v4, v23, 0xbf5db3d7, v10
	v_fmac_f32_e32 v10, 0x3f5db3d7, v23
	v_fma_f32 v6, -0.5, v5, v66
	v_mul_f32_e32 v37, v36, v1
	v_add_co_u32 v79, s1, v20, v79
	s_wait_alu 0xf1ff
	v_add_co_ci_u32_e64 v80, s1, v21, v80, s1
	v_add_co_u32 v81, s1, v20, v81
	v_fma_f32 v5, -0.5, v17, v62
	v_dual_add_f32 v18, v38, v18 :: v_dual_sub_f32 v43, v31, v32
	v_fma_f32 v38, v39, v2, -v30
	v_fmamk_f32 v1, v19, 0xbf5db3d7, v6
	v_dual_fmac_f32 v6, 0x3f5db3d7, v19 :: v_dual_fmac_f32 v37, v26, v0
	v_add_f32_e32 v17, v33, v42
	v_add_f32_e32 v33, v61, v41
	v_fmamk_f32 v3, v28, 0x3f5db3d7, v9
	v_fmac_f32_e32 v9, 0xbf5db3d7, v28
	v_add_f32_e32 v28, v41, v44
	v_fma_f32 v36, v36, v0, -v27
	v_add_f32_e32 v23, v31, v32
	v_add_f32_e32 v31, v53, v31
	s_wait_alu 0xf1ff
	v_add_co_ci_u32_e64 v82, s1, v21, v82, s1
	v_add_co_u32 v83, s1, v20, v83
	s_wait_alu 0xf1ff
	v_add_co_ci_u32_e64 v84, s1, v21, v84, s1
	v_add_co_u32 v85, s1, v20, v85
	v_dual_add_f32 v29, v31, v32 :: v_dual_add_f32 v2, v36, v38
	v_sub_f32_e32 v32, v36, v38
	v_fma_f32 v27, -0.5, v23, v53
	v_add_f32_e32 v23, v37, v40
	s_wait_alu 0xf1ff
	v_add_co_ci_u32_e64 v86, s1, v21, v86, s1
	v_add_co_u32 v87, s1, v20, v87
	v_fmamk_f32 v0, v34, 0x3f5db3d7, v5
	v_fma_f32 v26, -0.5, v28, v61
	v_dual_fmac_f32 v5, 0xbf5db3d7, v34 :: v_dual_add_f32 v34, v65, v36
	v_add_f32_e32 v36, v60, v37
	s_wait_alu 0xf1ff
	v_add_co_ci_u32_e64 v88, s1, v21, v88, s1
	v_sub_f32_e32 v19, v37, v40
	v_fma_f32 v31, -0.5, v2, v65
	v_fma_f32 v30, -0.5, v23, v60
	v_add_co_u32 v89, s1, v20, v89
	s_wait_alu 0xf1ff
	v_add_co_ci_u32_e64 v90, s1, v21, v90, s1
	v_sub_f32_e32 v42, v41, v44
	v_add_co_u32 v91, s1, v20, v91
	v_dual_add_f32 v37, v34, v38 :: v_dual_add_f32 v36, v36, v40
	v_fmamk_f32 v39, v19, 0xbf5db3d7, v31
	v_dual_fmamk_f32 v38, v32, 0x3f5db3d7, v30 :: v_dual_fmac_f32 v31, 0x3f5db3d7, v19
	v_fmac_f32_e32 v30, 0xbf5db3d7, v32
	s_wait_alu 0xf1ff
	v_add_co_ci_u32_e64 v92, s1, v21, v92, s1
	v_add_co_u32 v93, s1, v20, v93
	v_dual_add_f32 v28, v33, v44 :: v_dual_fmamk_f32 v33, v42, 0xbf5db3d7, v27
	v_fmamk_f32 v32, v43, 0x3f5db3d7, v26
	v_fmac_f32_e32 v26, 0xbf5db3d7, v43
	v_fmac_f32_e32 v27, 0x3f5db3d7, v42
	s_wait_alu 0xf1ff
	v_add_co_ci_u32_e64 v94, s1, v21, v94, s1
	s_clause 0xe
	global_store_b64 v[55:56], v[36:37], off
	global_store_b64 v[57:58], v[30:31], off
	;; [unrolled: 1-line block ×15, first 2 shown]
	s_and_b32 exec_lo, exec_lo, s0
	s_cbranch_execz .LBB0_34
; %bb.33:
	v_add_nc_u32_e32 v12, 0x22e, v54
	v_mad_co_u64_u32 v[4:5], null, s16, v22, 0
	v_subrev_nc_u32_e32 v0, 18, v54
	v_add_nc_u32_e32 v13, 0x34e, v54
	s_delay_alu instid0(VALU_DEP_4) | instskip(NEXT) | instid1(VALU_DEP_3)
	v_mad_co_u64_u32 v[6:7], null, s16, v12, 0
	v_cndmask_b32_e32 v0, v0, v48, vcc_lo
	s_delay_alu instid0(VALU_DEP_3) | instskip(NEXT) | instid1(VALU_DEP_3)
	v_mad_co_u64_u32 v[8:9], null, s16, v13, 0
	v_mad_co_u64_u32 v[10:11], null, s17, v22, v[5:6]
	s_delay_alu instid0(VALU_DEP_3) | instskip(NEXT) | instid1(VALU_DEP_3)
	v_lshlrev_b32_e32 v34, 1, v0
	v_mad_co_u64_u32 v[11:12], null, s17, v12, v[7:8]
	s_delay_alu instid0(VALU_DEP_3) | instskip(NEXT) | instid1(VALU_DEP_3)
	v_mov_b32_e32 v5, v10
	v_lshlrev_b64_e32 v[0:1], 3, v[34:35]
	v_mad_co_u64_u32 v[12:13], null, s17, v13, v[9:10]
	s_delay_alu instid0(VALU_DEP_4) | instskip(NEXT) | instid1(VALU_DEP_4)
	v_mov_b32_e32 v7, v11
	v_lshlrev_b64_e32 v[4:5], 3, v[4:5]
	s_delay_alu instid0(VALU_DEP_4) | instskip(SKIP_3) | instid1(VALU_DEP_4)
	v_add_co_u32 v0, vcc_lo, s4, v0
	s_wait_alu 0xfffd
	v_add_co_ci_u32_e32 v1, vcc_lo, s5, v1, vcc_lo
	v_lshlrev_b64_e32 v[6:7], 3, v[6:7]
	v_add_co_u32 v4, vcc_lo, v20, v4
	global_load_b128 v[0:3], v[0:1], off offset:2280
	v_mov_b32_e32 v9, v12
	s_wait_alu 0xfffd
	v_add_co_ci_u32_e32 v5, vcc_lo, v21, v5, vcc_lo
	v_add_co_u32 v6, vcc_lo, v20, v6
	s_wait_alu 0xfffd
	v_add_co_ci_u32_e32 v7, vcc_lo, v21, v7, vcc_lo
	s_wait_loadcnt 0x0
	v_dual_mul_f32 v10, v51, v1 :: v_dual_mul_f32 v11, v52, v3
	v_lshlrev_b64_e32 v[8:9], 3, v[8:9]
	s_delay_alu instid0(VALU_DEP_2) | instskip(NEXT) | instid1(VALU_DEP_3)
	v_dual_fmac_f32 v10, v49, v0 :: v_dual_mul_f32 v3, v50, v3
	v_fmac_f32_e32 v11, v50, v2
	v_mul_f32_e32 v1, v49, v1
	s_delay_alu instid0(VALU_DEP_3) | instskip(NEXT) | instid1(VALU_DEP_3)
	v_fma_f32 v3, v52, v2, -v3
	v_add_f32_e32 v2, v10, v11
	s_delay_alu instid0(VALU_DEP_3) | instskip(SKIP_3) | instid1(VALU_DEP_3)
	v_fma_f32 v12, v51, v0, -v1
	v_add_co_u32 v0, vcc_lo, v20, v8
	s_wait_alu 0xfffd
	v_add_co_ci_u32_e32 v1, vcc_lo, v21, v9, vcc_lo
	v_add_f32_e32 v9, v12, v3
	v_add_f32_e32 v8, v24, v10
	v_dual_fmac_f32 v24, -0.5, v2 :: v_dual_sub_f32 v13, v12, v3
	v_add_f32_e32 v12, v25, v12
	s_delay_alu instid0(VALU_DEP_4) | instskip(NEXT) | instid1(VALU_DEP_4)
	v_dual_sub_f32 v10, v10, v11 :: v_dual_fmac_f32 v25, -0.5, v9
	v_add_f32_e32 v2, v8, v11
	s_delay_alu instid0(VALU_DEP_3) | instskip(NEXT) | instid1(VALU_DEP_3)
	v_dual_fmamk_f32 v8, v13, 0xbf5db3d7, v24 :: v_dual_add_f32 v3, v12, v3
	v_dual_fmac_f32 v24, 0x3f5db3d7, v13 :: v_dual_fmamk_f32 v9, v10, 0x3f5db3d7, v25
	v_fmac_f32_e32 v25, 0xbf5db3d7, v10
	s_clause 0x2
	global_store_b64 v[4:5], v[2:3], off
	global_store_b64 v[6:7], v[8:9], off
	;; [unrolled: 1-line block ×3, first 2 shown]
.LBB0_34:
	s_nop 0
	s_sendmsg sendmsg(MSG_DEALLOC_VGPRS)
	s_endpgm
	.section	.rodata,"a",@progbits
	.p2align	6, 0x0
	.amdhsa_kernel fft_rtc_back_len864_factors_3_6_16_3_wgs_54_tpt_54_halfLds_sp_op_CI_CI_sbrr_dirReg
		.amdhsa_group_segment_fixed_size 0
		.amdhsa_private_segment_fixed_size 0
		.amdhsa_kernarg_size 104
		.amdhsa_user_sgpr_count 2
		.amdhsa_user_sgpr_dispatch_ptr 0
		.amdhsa_user_sgpr_queue_ptr 0
		.amdhsa_user_sgpr_kernarg_segment_ptr 1
		.amdhsa_user_sgpr_dispatch_id 0
		.amdhsa_user_sgpr_private_segment_size 0
		.amdhsa_wavefront_size32 1
		.amdhsa_uses_dynamic_stack 0
		.amdhsa_enable_private_segment 0
		.amdhsa_system_sgpr_workgroup_id_x 1
		.amdhsa_system_sgpr_workgroup_id_y 0
		.amdhsa_system_sgpr_workgroup_id_z 0
		.amdhsa_system_sgpr_workgroup_info 0
		.amdhsa_system_vgpr_workitem_id 0
		.amdhsa_next_free_vgpr 110
		.amdhsa_next_free_sgpr 43
		.amdhsa_reserve_vcc 1
		.amdhsa_float_round_mode_32 0
		.amdhsa_float_round_mode_16_64 0
		.amdhsa_float_denorm_mode_32 3
		.amdhsa_float_denorm_mode_16_64 3
		.amdhsa_fp16_overflow 0
		.amdhsa_workgroup_processor_mode 1
		.amdhsa_memory_ordered 1
		.amdhsa_forward_progress 0
		.amdhsa_round_robin_scheduling 0
		.amdhsa_exception_fp_ieee_invalid_op 0
		.amdhsa_exception_fp_denorm_src 0
		.amdhsa_exception_fp_ieee_div_zero 0
		.amdhsa_exception_fp_ieee_overflow 0
		.amdhsa_exception_fp_ieee_underflow 0
		.amdhsa_exception_fp_ieee_inexact 0
		.amdhsa_exception_int_div_zero 0
	.end_amdhsa_kernel
	.text
.Lfunc_end0:
	.size	fft_rtc_back_len864_factors_3_6_16_3_wgs_54_tpt_54_halfLds_sp_op_CI_CI_sbrr_dirReg, .Lfunc_end0-fft_rtc_back_len864_factors_3_6_16_3_wgs_54_tpt_54_halfLds_sp_op_CI_CI_sbrr_dirReg
                                        ; -- End function
	.section	.AMDGPU.csdata,"",@progbits
; Kernel info:
; codeLenInByte = 10812
; NumSgprs: 45
; NumVgprs: 110
; ScratchSize: 0
; MemoryBound: 0
; FloatMode: 240
; IeeeMode: 1
; LDSByteSize: 0 bytes/workgroup (compile time only)
; SGPRBlocks: 5
; VGPRBlocks: 13
; NumSGPRsForWavesPerEU: 45
; NumVGPRsForWavesPerEU: 110
; Occupancy: 12
; WaveLimiterHint : 1
; COMPUTE_PGM_RSRC2:SCRATCH_EN: 0
; COMPUTE_PGM_RSRC2:USER_SGPR: 2
; COMPUTE_PGM_RSRC2:TRAP_HANDLER: 0
; COMPUTE_PGM_RSRC2:TGID_X_EN: 1
; COMPUTE_PGM_RSRC2:TGID_Y_EN: 0
; COMPUTE_PGM_RSRC2:TGID_Z_EN: 0
; COMPUTE_PGM_RSRC2:TIDIG_COMP_CNT: 0
	.text
	.p2alignl 7, 3214868480
	.fill 96, 4, 3214868480
	.type	__hip_cuid_e15e499c11aa84ff,@object ; @__hip_cuid_e15e499c11aa84ff
	.section	.bss,"aw",@nobits
	.globl	__hip_cuid_e15e499c11aa84ff
__hip_cuid_e15e499c11aa84ff:
	.byte	0                               ; 0x0
	.size	__hip_cuid_e15e499c11aa84ff, 1

	.ident	"AMD clang version 19.0.0git (https://github.com/RadeonOpenCompute/llvm-project roc-6.4.0 25133 c7fe45cf4b819c5991fe208aaa96edf142730f1d)"
	.section	".note.GNU-stack","",@progbits
	.addrsig
	.addrsig_sym __hip_cuid_e15e499c11aa84ff
	.amdgpu_metadata
---
amdhsa.kernels:
  - .args:
      - .actual_access:  read_only
        .address_space:  global
        .offset:         0
        .size:           8
        .value_kind:     global_buffer
      - .offset:         8
        .size:           8
        .value_kind:     by_value
      - .actual_access:  read_only
        .address_space:  global
        .offset:         16
        .size:           8
        .value_kind:     global_buffer
      - .actual_access:  read_only
        .address_space:  global
        .offset:         24
        .size:           8
        .value_kind:     global_buffer
      - .actual_access:  read_only
        .address_space:  global
        .offset:         32
        .size:           8
        .value_kind:     global_buffer
      - .offset:         40
        .size:           8
        .value_kind:     by_value
      - .actual_access:  read_only
        .address_space:  global
        .offset:         48
        .size:           8
        .value_kind:     global_buffer
      - .actual_access:  read_only
        .address_space:  global
        .offset:         56
        .size:           8
        .value_kind:     global_buffer
      - .offset:         64
        .size:           4
        .value_kind:     by_value
      - .actual_access:  read_only
        .address_space:  global
        .offset:         72
        .size:           8
        .value_kind:     global_buffer
      - .actual_access:  read_only
        .address_space:  global
        .offset:         80
        .size:           8
        .value_kind:     global_buffer
      - .actual_access:  read_only
        .address_space:  global
        .offset:         88
        .size:           8
        .value_kind:     global_buffer
      - .actual_access:  write_only
        .address_space:  global
        .offset:         96
        .size:           8
        .value_kind:     global_buffer
    .group_segment_fixed_size: 0
    .kernarg_segment_align: 8
    .kernarg_segment_size: 104
    .language:       OpenCL C
    .language_version:
      - 2
      - 0
    .max_flat_workgroup_size: 54
    .name:           fft_rtc_back_len864_factors_3_6_16_3_wgs_54_tpt_54_halfLds_sp_op_CI_CI_sbrr_dirReg
    .private_segment_fixed_size: 0
    .sgpr_count:     45
    .sgpr_spill_count: 0
    .symbol:         fft_rtc_back_len864_factors_3_6_16_3_wgs_54_tpt_54_halfLds_sp_op_CI_CI_sbrr_dirReg.kd
    .uniform_work_group_size: 1
    .uses_dynamic_stack: false
    .vgpr_count:     110
    .vgpr_spill_count: 0
    .wavefront_size: 32
    .workgroup_processor_mode: 1
amdhsa.target:   amdgcn-amd-amdhsa--gfx1201
amdhsa.version:
  - 1
  - 2
...

	.end_amdgpu_metadata
